;; amdgpu-corpus repo=ROCm/aiter kind=compiled arch=gfx942 opt=O3
	.text
	.amdgcn_target "amdgcn-amd-amdhsa--gfx942"
	.amdhsa_code_object_version 6
	.section	.text._ZN7ck_tileL11flush_cacheEv,"axG",@progbits,_ZN7ck_tileL11flush_cacheEv,comdat
	.globl	_ZN7ck_tileL11flush_cacheEv     ; -- Begin function _ZN7ck_tileL11flush_cacheEv
	.p2align	8
	.type	_ZN7ck_tileL11flush_cacheEv,@function
_ZN7ck_tileL11flush_cacheEv:            ; @_ZN7ck_tileL11flush_cacheEv
; %bb.0:
	;;#ASMSTART
	s_icache_inv 
	s_nop 0 
	s_nop 0 
	;; [unrolled: 1-line block ×16, first 2 shown]
	
	;;#ASMEND
	s_endpgm
	.section	.rodata,"a",@progbits
	.p2align	6, 0x0
	.amdhsa_kernel _ZN7ck_tileL11flush_cacheEv
		.amdhsa_group_segment_fixed_size 0
		.amdhsa_private_segment_fixed_size 0
		.amdhsa_kernarg_size 0
		.amdhsa_user_sgpr_count 0
		.amdhsa_user_sgpr_dispatch_ptr 0
		.amdhsa_user_sgpr_queue_ptr 0
		.amdhsa_user_sgpr_kernarg_segment_ptr 0
		.amdhsa_user_sgpr_dispatch_id 0
		.amdhsa_user_sgpr_kernarg_preload_length 0
		.amdhsa_user_sgpr_kernarg_preload_offset 0
		.amdhsa_user_sgpr_private_segment_size 0
		.amdhsa_uses_dynamic_stack 0
		.amdhsa_enable_private_segment 0
		.amdhsa_system_sgpr_workgroup_id_x 1
		.amdhsa_system_sgpr_workgroup_id_y 0
		.amdhsa_system_sgpr_workgroup_id_z 0
		.amdhsa_system_sgpr_workgroup_info 0
		.amdhsa_system_vgpr_workitem_id 0
		.amdhsa_next_free_vgpr 1
		.amdhsa_next_free_sgpr 0
		.amdhsa_accum_offset 4
		.amdhsa_reserve_vcc 0
		.amdhsa_float_round_mode_32 0
		.amdhsa_float_round_mode_16_64 0
		.amdhsa_float_denorm_mode_32 3
		.amdhsa_float_denorm_mode_16_64 3
		.amdhsa_dx10_clamp 1
		.amdhsa_ieee_mode 1
		.amdhsa_fp16_overflow 0
		.amdhsa_tg_split 0
		.amdhsa_exception_fp_ieee_invalid_op 0
		.amdhsa_exception_fp_denorm_src 0
		.amdhsa_exception_fp_ieee_div_zero 0
		.amdhsa_exception_fp_ieee_overflow 0
		.amdhsa_exception_fp_ieee_underflow 0
		.amdhsa_exception_fp_ieee_inexact 0
		.amdhsa_exception_int_div_zero 0
	.end_amdhsa_kernel
	.section	.text._ZN7ck_tileL11flush_cacheEv,"axG",@progbits,_ZN7ck_tileL11flush_cacheEv,comdat
.Lfunc_end0:
	.size	_ZN7ck_tileL11flush_cacheEv, .Lfunc_end0-_ZN7ck_tileL11flush_cacheEv
                                        ; -- End function
	.section	.AMDGPU.csdata,"",@progbits
; Kernel info:
; codeLenInByte = 140
; NumSgprs: 6
; NumVgprs: 0
; NumAgprs: 0
; TotalNumVgprs: 0
; ScratchSize: 0
; MemoryBound: 0
; FloatMode: 240
; IeeeMode: 1
; LDSByteSize: 0 bytes/workgroup (compile time only)
; SGPRBlocks: 0
; VGPRBlocks: 0
; NumSGPRsForWavesPerEU: 6
; NumVGPRsForWavesPerEU: 1
; AccumOffset: 4
; Occupancy: 8
; WaveLimiterHint : 0
; COMPUTE_PGM_RSRC2:SCRATCH_EN: 0
; COMPUTE_PGM_RSRC2:USER_SGPR: 0
; COMPUTE_PGM_RSRC2:TRAP_HANDLER: 0
; COMPUTE_PGM_RSRC2:TGID_X_EN: 1
; COMPUTE_PGM_RSRC2:TGID_Y_EN: 0
; COMPUTE_PGM_RSRC2:TGID_Z_EN: 0
; COMPUTE_PGM_RSRC2:TIDIG_COMP_CNT: 0
; COMPUTE_PGM_RSRC3_GFX90A:ACCUM_OFFSET: 0
; COMPUTE_PGM_RSRC3_GFX90A:TG_SPLIT: 0
	.section	.text._ZN5aiter36gated_rmsnorm_fp8_group_quant_kernelItDB8_Li128ELi16ELi256ELb1EEEvPT0_PfPKT_S7_S7_diiillll,"axG",@progbits,_ZN5aiter36gated_rmsnorm_fp8_group_quant_kernelItDB8_Li128ELi16ELi256ELb1EEEvPT0_PfPKT_S7_S7_diiillll,comdat
	.protected	_ZN5aiter36gated_rmsnorm_fp8_group_quant_kernelItDB8_Li128ELi16ELi256ELb1EEEvPT0_PfPKT_S7_S7_diiillll ; -- Begin function _ZN5aiter36gated_rmsnorm_fp8_group_quant_kernelItDB8_Li128ELi16ELi256ELb1EEEvPT0_PfPKT_S7_S7_diiillll
	.globl	_ZN5aiter36gated_rmsnorm_fp8_group_quant_kernelItDB8_Li128ELi16ELi256ELb1EEEvPT0_PfPKT_S7_S7_diiillll
	.p2align	8
	.type	_ZN5aiter36gated_rmsnorm_fp8_group_quant_kernelItDB8_Li128ELi16ELi256ELb1EEEvPT0_PfPKT_S7_S7_diiillll,@function
_ZN5aiter36gated_rmsnorm_fp8_group_quant_kernelItDB8_Li128ELi16ELi256ELb1EEEvPT0_PfPKT_S7_S7_diiillll: ; @_ZN5aiter36gated_rmsnorm_fp8_group_quant_kernelItDB8_Li128ELi16ELi256ELb1EEEvPT0_PfPKT_S7_S7_diiillll
; %bb.0:
	s_load_dwordx4 s[20:23], s[0:1], 0x30
	v_lshrrev_b32_e32 v1, 3, v0
	v_and_b32_e32 v2, 0x78, v1
	v_lshl_add_u32 v2, s3, 5, v2
	v_and_or_b32 v48, v1, 7, v2
	s_waitcnt lgkmcnt(0)
	s_cmp_lt_i32 s2, s20
	s_cselect_b64 s[4:5], -1, 0
	v_cmp_gt_i32_e32 vcc, s21, v48
	s_and_b64 s[4:5], s[4:5], vcc
	s_and_saveexec_b64 s[6:7], s[4:5]
	s_cbranch_execz .LBB1_3
; %bb.1:
	s_load_dwordx8 s[12:19], s[0:1], 0x40
	s_load_dwordx8 s[4:11], s[0:1], 0x10
	v_ashrrev_i32_e32 v2, 31, v48
	v_and_b32_e32 v49, 7, v0
	s_ashr_i32 s3, s2, 31
	s_waitcnt lgkmcnt(0)
	s_mul_i32 s13, s2, s13
	s_mul_hi_u32 s23, s2, s12
	v_mul_lo_u32 v3, v48, s15
	v_mul_lo_u32 v4, v2, s14
	v_mad_u64_u32 v[0:1], s[14:15], v48, s14, 0
	s_add_i32 s13, s23, s13
	s_mul_i32 s23, s3, s12
	s_mul_i32 s14, s2, s17
	s_mul_hi_u32 s15, s2, s16
	s_add_i32 s13, s13, s23
	s_mul_i32 s12, s2, s12
	s_add_i32 s14, s15, s14
	s_mul_i32 s3, s3, s16
	s_add_i32 s15, s14, s3
	s_lshl_b64 s[12:13], s[12:13], 1
	s_add_u32 s4, s4, s12
	v_add3_u32 v1, v1, v3, v4
	s_addc_u32 s5, s5, s13
	v_mov_b32_e32 v17, 0
	v_lshl_add_u64 v[0:1], v[0:1], 1, s[4:5]
	v_lshlrev_b32_e32 v4, 5, v49
	v_mov_b32_e32 v5, v17
	v_lshl_add_u64 v[0:1], v[0:1], 0, v[4:5]
	global_load_dwordx4 v[12:15], v[0:1], off
	global_load_dwordx4 v[18:21], v[0:1], off offset:16
	s_mul_i32 s14, s2, s16
	v_mad_u64_u32 v[0:1], s[4:5], v48, s18, 0
	s_lshl_b64 s[4:5], s[14:15], 1
	v_mul_lo_u32 v3, v48, s19
	v_mul_lo_u32 v2, v2, s18
	s_add_u32 s4, s6, s4
	v_add3_u32 v1, v1, v3, v2
	s_addc_u32 s5, s7, s5
	v_lshl_add_u64 v[0:1], v[0:1], 1, s[4:5]
	v_lshl_add_u64 v[0:1], v[0:1], 0, v[4:5]
	global_load_dwordx4 v[8:11], v[0:1], off
	s_mov_b32 s3, 0xbfb8aa3b
	v_mbcnt_lo_u32_b32 v2, -1, 0
	v_mbcnt_hi_u32_b32 v5, -1, v2
	v_and_b32_e32 v2, 64, v5
	v_xor_b32_e32 v3, 4, v5
	v_add_u32_e32 v7, 64, v2
	v_cmp_lt_i32_e32 vcc, v3, v7
	v_xor_b32_e32 v6, 2, v5
	s_mov_b32 s4, 0x42ce8ed0
	v_cndmask_b32_e32 v2, v5, v3, vcc
	v_lshlrev_b32_e32 v16, 2, v2
	v_cmp_lt_i32_e32 vcc, v6, v7
	s_mov_b32 s5, 0xc2b17218
	global_load_dwordx4 v[0:3], v[0:1], off offset:16
	v_cndmask_b32_e32 v6, v5, v6, vcc
	v_lshlrev_b32_e32 v50, 2, v6
	s_waitcnt vmcnt(3)
	v_lshlrev_b32_e32 v54, 16, v12
	v_and_b32_e32 v46, 0xffff0000, v12
	v_mul_f32_e32 v12, v54, v54
	v_lshlrev_b32_e32 v44, 16, v13
	v_and_b32_e32 v42, 0xffff0000, v13
	v_mul_f32_e32 v13, v46, v46
	v_add_f32_e32 v12, 0, v12
	v_lshlrev_b32_e32 v40, 16, v14
	v_and_b32_e32 v38, 0xffff0000, v14
	v_mul_f32_e32 v14, v44, v44
	v_add_f32_e32 v12, v12, v13
	;; [unrolled: 4-line block ×3, first 2 shown]
	s_waitcnt vmcnt(2)
	v_lshlrev_b32_e32 v28, 16, v19
	v_and_b32_e32 v26, 0xffff0000, v19
	v_mul_f32_e32 v19, v40, v40
	v_add_f32_e32 v12, v12, v15
	v_lshlrev_b32_e32 v32, 16, v18
	v_and_b32_e32 v30, 0xffff0000, v18
	v_lshlrev_b32_e32 v24, 16, v20
	v_and_b32_e32 v22, 0xffff0000, v20
	;; [unrolled: 2-line block ×3, first 2 shown]
	v_mul_f32_e32 v21, v38, v38
	s_waitcnt vmcnt(1)
	v_lshlrev_b32_e32 v57, 16, v8
	v_add_f32_e32 v12, v12, v19
	v_mul_f32_e32 v23, v36, v36
	v_mul_f32_e32 v13, 0xbfb8aa3b, v57
	v_add_f32_e32 v12, v12, v21
	v_mul_f32_e32 v25, v34, v34
	v_fma_f32 v14, v57, s3, -v13
	v_rndne_f32_e32 v15, v13
	v_add_f32_e32 v12, v12, v23
	v_mul_f32_e32 v27, v32, v32
	v_fmac_f32_e32 v14, 0xb2a5705f, v57
	v_sub_f32_e32 v13, v13, v15
	v_add_f32_e32 v12, v12, v25
	v_add_f32_e32 v13, v13, v14
	v_mul_f32_e32 v14, v30, v30
	v_add_f32_e32 v12, v12, v27
	v_mul_f32_e32 v19, v28, v28
	;; [unrolled: 2-line block ×7, first 2 shown]
	v_cvt_i32_f32_e32 v15, v15
	v_exp_f32_e32 v13, v13
	v_add_f32_e32 v12, v12, v14
	v_add_f32_e32 v12, v12, v19
	ds_bpermute_b32 v14, v16, v12
	v_ldexp_f32 v6, v13, v15
	v_cmp_nlt_f32_e32 vcc, s4, v57
	v_mov_b32_e32 v19, 0x7f800000
	s_waitcnt lgkmcnt(0)
	v_add_f32_e32 v12, v12, v14
	v_cndmask_b32_e32 v6, 0, v6, vcc
	v_cmp_ngt_f32_e32 vcc, s5, v57
	ds_bpermute_b32 v13, v50, v12
	s_waitcnt lgkmcnt(0)
	v_add_f32_e32 v21, v12, v13
	v_cndmask_b32_e32 v6, v19, v6, vcc
	v_add_f32_e32 v6, 1.0, v6
	v_div_scale_f32 v14, s[6:7], v6, v6, 1.0
	v_rcp_f32_e32 v15, v14
	s_mov_b32 s6, 0x800000
	v_fma_f32 v12, -v14, v15, 1.0
	v_fmac_f32_e32 v15, v12, v15
	v_div_scale_f32 v12, vcc, 1.0, v6, 1.0
	v_mul_f32_e32 v13, v12, v15
	v_fma_f32 v23, -v14, v13, v12
	v_fmac_f32_e32 v13, v23, v15
	v_fma_f32 v12, -v14, v13, v12
	v_div_fmas_f32 v25, v12, v15, v13
	global_load_dwordx4 v[12:15], v4, s[8:9]
	v_xor_b32_e32 v23, 1, v5
	v_cmp_lt_i32_e32 vcc, v23, v7
	v_cvt_f32_f64_e32 v7, s[10:11]
	v_div_fixup_f32 v55, v25, v6, 1.0
	v_cndmask_b32_e32 v5, v5, v23, vcc
	v_lshlrev_b32_e32 v52, 2, v5
	ds_bpermute_b32 v5, v52, v21
	s_waitcnt lgkmcnt(0)
	v_add_f32_e32 v5, v21, v5
	v_fmamk_f32 v5, v5, 0x3c000000, v7
	v_mul_f32_e32 v7, 0x4b800000, v5
	v_cmp_gt_f32_e32 vcc, s6, v5
	s_waitcnt vmcnt(0)
	v_lshlrev_b32_e32 v56, 16, v12
	v_cndmask_b32_e32 v5, v5, v7, vcc
	v_rsq_f32_e32 v21, v5
	v_pk_mul_f32 v[54:55], v[54:55], v[56:57]
	global_load_dwordx4 v[4:7], v4, s[8:9] offset:16
	v_mul_f32_e32 v23, 0x45800000, v21
	v_cndmask_b32_e32 v53, v21, v23, vcc
	v_mul_f32_e32 v21, v53, v54
	v_mul_f32_e32 v51, v21, v55
	v_and_b32_e32 v55, 0xffff0000, v8
	v_mul_f32_e32 v8, 0xbfb8aa3b, v55
	v_fma_f32 v21, v55, s3, -v8
	v_rndne_f32_e32 v23, v8
	v_fmac_f32_e32 v21, 0xb2a5705f, v55
	v_sub_f32_e32 v8, v8, v23
	v_add_f32_e32 v8, v8, v21
	v_exp_f32_e32 v8, v8
	v_cvt_i32_f32_e32 v21, v23
	v_cmp_nlt_f32_e32 vcc, s4, v55
	v_and_b32_e32 v54, 0xffff0000, v12
	v_ldexp_f32 v8, v8, v21
	v_cndmask_b32_e32 v8, 0, v8, vcc
	v_cmp_ngt_f32_e32 vcc, s5, v55
	s_nop 1
	v_cndmask_b32_e32 v8, v19, v8, vcc
	v_add_f32_e32 v8, 1.0, v8
	v_div_scale_f32 v21, s[6:7], v8, v8, 1.0
	v_rcp_f32_e32 v23, v21
	s_nop 0
	v_fma_f32 v25, -v21, v23, 1.0
	v_fmac_f32_e32 v23, v25, v23
	v_div_scale_f32 v25, vcc, 1.0, v8, 1.0
	v_mul_f32_e32 v27, v25, v23
	v_fma_f32 v29, -v21, v27, v25
	v_fmac_f32_e32 v27, v29, v23
	v_fma_f32 v21, -v21, v27, v25
	v_div_fmas_f32 v21, v21, v23, v27
	v_div_fixup_f32 v47, v21, v8, 1.0
	v_pk_mul_f32 v[46:47], v[46:47], v[54:55]
	s_nop 0
	v_mul_f32_e32 v8, v53, v46
	v_mul_f32_e32 v8, v8, v47
	v_lshlrev_b32_e32 v47, 16, v9
	v_mul_f32_e32 v12, 0xbfb8aa3b, v47
	v_fma_f32 v21, v47, s3, -v12
	v_rndne_f32_e32 v23, v12
	v_fmac_f32_e32 v21, 0xb2a5705f, v47
	v_sub_f32_e32 v12, v12, v23
	v_add_f32_e32 v12, v12, v21
	v_exp_f32_e32 v12, v12
	v_cvt_i32_f32_e32 v21, v23
	v_cmp_nlt_f32_e32 vcc, s4, v47
	v_lshlrev_b32_e32 v46, 16, v13
	v_ldexp_f32 v12, v12, v21
	v_cndmask_b32_e32 v12, 0, v12, vcc
	v_cmp_ngt_f32_e32 vcc, s5, v47
	s_nop 1
	v_cndmask_b32_e32 v12, v19, v12, vcc
	v_add_f32_e32 v12, 1.0, v12
	v_div_scale_f32 v21, s[6:7], v12, v12, 1.0
	v_rcp_f32_e32 v23, v21
	s_nop 0
	v_fma_f32 v25, -v21, v23, 1.0
	v_fmac_f32_e32 v23, v25, v23
	v_div_scale_f32 v25, vcc, 1.0, v12, 1.0
	v_mul_f32_e32 v27, v25, v23
	v_fma_f32 v29, -v21, v27, v25
	v_fmac_f32_e32 v27, v29, v23
	v_fma_f32 v21, -v21, v27, v25
	v_div_fmas_f32 v21, v21, v23, v27
	v_div_fixup_f32 v45, v21, v12, 1.0
	v_pk_mul_f32 v[44:45], v[44:45], v[46:47]
	v_and_b32_e32 v47, 0xffff0000, v9
	v_mul_f32_e32 v9, 0xbfb8aa3b, v47
	v_fma_f32 v12, v47, s3, -v9
	v_rndne_f32_e32 v21, v9
	v_fmac_f32_e32 v12, 0xb2a5705f, v47
	v_sub_f32_e32 v9, v9, v21
	v_add_f32_e32 v9, v9, v12
	v_exp_f32_e32 v12, v9
	v_cvt_i32_f32_e32 v21, v21
	v_cmp_nlt_f32_e32 vcc, s4, v47
	v_mul_f32_e32 v9, v53, v44
	v_mul_f32_e32 v9, v9, v45
	v_ldexp_f32 v12, v12, v21
	v_cndmask_b32_e32 v12, 0, v12, vcc
	v_cmp_ngt_f32_e32 vcc, s5, v47
	v_lshlrev_b32_e32 v45, 16, v10
	v_and_b32_e32 v46, 0xffff0000, v13
	v_cndmask_b32_e32 v12, v19, v12, vcc
	v_add_f32_e32 v12, 1.0, v12
	v_div_scale_f32 v21, s[6:7], v12, v12, 1.0
	v_rcp_f32_e32 v23, v21
	v_lshlrev_b32_e32 v44, 16, v14
	v_fma_f32 v25, -v21, v23, 1.0
	v_fmac_f32_e32 v23, v25, v23
	v_div_scale_f32 v25, vcc, 1.0, v12, 1.0
	v_mul_f32_e32 v27, v25, v23
	v_fma_f32 v29, -v21, v27, v25
	v_fmac_f32_e32 v27, v29, v23
	v_fma_f32 v21, -v21, v27, v25
	v_div_fmas_f32 v21, v21, v23, v27
	v_div_fixup_f32 v43, v21, v12, 1.0
	v_mul_f32_e32 v12, 0xbfb8aa3b, v45
	v_fma_f32 v21, v45, s3, -v12
	v_rndne_f32_e32 v23, v12
	v_fmac_f32_e32 v21, 0xb2a5705f, v45
	v_sub_f32_e32 v12, v12, v23
	v_add_f32_e32 v12, v12, v21
	v_exp_f32_e32 v21, v12
	v_cvt_i32_f32_e32 v23, v23
	v_cmp_nlt_f32_e32 vcc, s4, v45
	v_pk_mul_f32 v[12:13], v[42:43], v[46:47]
	v_and_b32_e32 v43, 0xffff0000, v10
	v_ldexp_f32 v21, v21, v23
	v_cndmask_b32_e32 v21, 0, v21, vcc
	v_cmp_ngt_f32_e32 vcc, s5, v45
	v_mul_f32_e32 v12, v53, v12
	v_mul_f32_e32 v12, v12, v13
	v_cndmask_b32_e32 v21, v19, v21, vcc
	v_add_f32_e32 v21, 1.0, v21
	v_div_scale_f32 v23, s[6:7], v21, v21, 1.0
	v_rcp_f32_e32 v25, v23
	v_mul_f32_e32 v10, 0xbfb8aa3b, v43
	v_and_b32_e32 v42, 0xffff0000, v14
	v_fma_f32 v13, -v23, v25, 1.0
	v_fmac_f32_e32 v25, v13, v25
	v_div_scale_f32 v13, vcc, 1.0, v21, 1.0
	v_mul_f32_e32 v27, v13, v25
	v_fma_f32 v29, -v23, v27, v13
	v_fmac_f32_e32 v27, v29, v25
	v_fma_f32 v13, -v23, v27, v13
	v_div_fmas_f32 v13, v13, v25, v27
	v_div_fixup_f32 v41, v13, v21, 1.0
	v_fma_f32 v13, v43, s3, -v10
	v_rndne_f32_e32 v21, v10
	v_fmac_f32_e32 v13, 0xb2a5705f, v43
	v_sub_f32_e32 v10, v10, v21
	v_add_f32_e32 v10, v10, v13
	v_exp_f32_e32 v10, v10
	v_cvt_i32_f32_e32 v13, v21
	v_cmp_nlt_f32_e32 vcc, s4, v43
	v_pk_mul_f32 v[40:41], v[40:41], v[44:45]
	v_ldexp_f32 v10, v10, v13
	v_cndmask_b32_e32 v10, 0, v10, vcc
	v_cmp_ngt_f32_e32 vcc, s5, v43
	s_nop 1
	v_cndmask_b32_e32 v10, v19, v10, vcc
	v_add_f32_e32 v13, 1.0, v10
	v_div_scale_f32 v21, s[6:7], v13, v13, 1.0
	v_rcp_f32_e32 v23, v21
	v_mul_f32_e32 v10, v53, v40
	v_mul_f32_e32 v10, v10, v41
	v_lshlrev_b32_e32 v41, 16, v11
	v_fma_f32 v25, -v21, v23, 1.0
	v_fmac_f32_e32 v23, v25, v23
	v_div_scale_f32 v25, vcc, 1.0, v13, 1.0
	v_mul_f32_e32 v27, v25, v23
	v_fma_f32 v29, -v21, v27, v25
	v_fmac_f32_e32 v27, v29, v23
	v_fma_f32 v21, -v21, v27, v25
	v_div_fmas_f32 v21, v21, v23, v27
	v_mul_f32_e32 v23, 0xbfb8aa3b, v41
	v_fma_f32 v25, v41, s3, -v23
	v_rndne_f32_e32 v27, v23
	v_fmac_f32_e32 v25, 0xb2a5705f, v41
	v_sub_f32_e32 v23, v23, v27
	v_add_f32_e32 v23, v23, v25
	v_exp_f32_e32 v23, v23
	v_cvt_i32_f32_e32 v25, v27
	v_div_fixup_f32 v39, v21, v13, 1.0
	v_cmp_nlt_f32_e32 vcc, s4, v41
	v_pk_mul_f32 v[38:39], v[38:39], v[42:43]
	v_ldexp_f32 v13, v23, v25
	v_cndmask_b32_e32 v13, 0, v13, vcc
	v_cmp_ngt_f32_e32 vcc, s5, v41
	v_lshlrev_b32_e32 v40, 16, v15
	s_nop 0
	v_cndmask_b32_e32 v13, v19, v13, vcc
	v_add_f32_e32 v14, 1.0, v13
	v_div_scale_f32 v21, s[6:7], v14, v14, 1.0
	v_rcp_f32_e32 v23, v21
	v_mul_f32_e32 v13, v53, v38
	v_mul_f32_e32 v13, v13, v39
	v_and_b32_e32 v39, 0xffff0000, v11
	v_fma_f32 v25, -v21, v23, 1.0
	v_fmac_f32_e32 v23, v25, v23
	v_div_scale_f32 v25, vcc, 1.0, v14, 1.0
	v_mul_f32_e32 v27, v25, v23
	v_fma_f32 v29, -v21, v27, v25
	v_fmac_f32_e32 v27, v29, v23
	v_mul_f32_e32 v11, 0xbfb8aa3b, v39
	v_fma_f32 v21, -v21, v27, v25
	v_fma_f32 v25, v39, s3, -v11
	v_rndne_f32_e32 v29, v11
	v_fmac_f32_e32 v25, 0xb2a5705f, v39
	v_sub_f32_e32 v11, v11, v29
	v_add_f32_e32 v11, v11, v25
	v_exp_f32_e32 v11, v11
	v_cvt_i32_f32_e32 v25, v29
	v_div_fmas_f32 v21, v21, v23, v27
	v_cmp_nlt_f32_e32 vcc, s4, v39
	v_div_fixup_f32 v37, v21, v14, 1.0
	v_ldexp_f32 v11, v11, v25
	v_cndmask_b32_e32 v11, 0, v11, vcc
	v_cmp_ngt_f32_e32 vcc, s5, v39
	v_and_b32_e32 v38, 0xffff0000, v15
	v_pk_mul_f32 v[36:37], v[36:37], v[40:41]
	v_cndmask_b32_e32 v11, v19, v11, vcc
	v_add_f32_e32 v14, 1.0, v11
	v_div_scale_f32 v21, s[6:7], v14, v14, 1.0
	v_rcp_f32_e32 v23, v21
	v_mul_f32_e32 v11, v53, v36
	v_mul_f32_e32 v11, v11, v37
	v_lshlrev_b32_e32 v37, 16, v0
	v_fma_f32 v15, -v21, v23, 1.0
	v_fmac_f32_e32 v23, v15, v23
	v_div_scale_f32 v15, vcc, 1.0, v14, 1.0
	v_mul_f32_e32 v25, v15, v23
	v_fma_f32 v27, -v21, v25, v15
	v_fmac_f32_e32 v25, v27, v23
	v_fma_f32 v15, -v21, v25, v15
	v_mul_f32_e32 v21, 0xbfb8aa3b, v37
	v_fma_f32 v27, v37, s3, -v21
	v_rndne_f32_e32 v29, v21
	v_fmac_f32_e32 v27, 0xb2a5705f, v37
	v_sub_f32_e32 v21, v21, v29
	v_add_f32_e32 v21, v21, v27
	v_exp_f32_e32 v21, v21
	v_cvt_i32_f32_e32 v27, v29
	v_div_fmas_f32 v15, v15, v23, v25
	v_cmp_nlt_f32_e32 vcc, s4, v37
	v_div_fixup_f32 v35, v15, v14, 1.0
	v_ldexp_f32 v21, v21, v27
	v_cndmask_b32_e32 v21, 0, v21, vcc
	v_cmp_ngt_f32_e32 vcc, s5, v37
	v_pk_mul_f32 v[14:15], v[34:35], v[38:39]
	v_and_b32_e32 v35, 0xffff0000, v0
	v_cndmask_b32_e32 v21, v19, v21, vcc
	v_add_f32_e32 v21, 1.0, v21
	v_div_scale_f32 v23, s[6:7], v21, v21, 1.0
	v_rcp_f32_e32 v25, v23
	v_mul_f32_e32 v14, v53, v14
	v_mul_f32_e32 v14, v14, v15
	;; [unrolled: 1-line block ×3, first 2 shown]
	v_fma_f32 v15, -v23, v25, 1.0
	v_fmac_f32_e32 v25, v15, v25
	v_div_scale_f32 v15, vcc, 1.0, v21, 1.0
	v_mul_f32_e32 v27, v15, v25
	v_fma_f32 v29, -v23, v27, v15
	v_fmac_f32_e32 v27, v29, v25
	v_fma_f32 v15, -v23, v27, v15
	v_fma_f32 v23, v35, s3, -v0
	v_rndne_f32_e32 v29, v0
	v_fmac_f32_e32 v23, 0xb2a5705f, v35
	v_sub_f32_e32 v0, v0, v29
	v_add_f32_e32 v0, v0, v23
	v_exp_f32_e32 v0, v0
	v_cvt_i32_f32_e32 v23, v29
	v_div_fmas_f32 v15, v15, v25, v27
	v_cmp_nlt_f32_e32 vcc, s4, v35
	v_div_fixup_f32 v33, v15, v21, 1.0
	v_ldexp_f32 v0, v0, v23
	v_cndmask_b32_e32 v0, 0, v0, vcc
	v_cmp_ngt_f32_e32 vcc, s5, v35
	s_waitcnt vmcnt(0)
	v_lshlrev_b32_e32 v36, 16, v4
	v_and_b32_e32 v34, 0xffff0000, v4
	v_cndmask_b32_e32 v0, v19, v0, vcc
	v_add_f32_e32 v15, 1.0, v0
	v_div_scale_f32 v21, s[6:7], v15, v15, 1.0
	v_rcp_f32_e32 v23, v21
	v_pk_mul_f32 v[32:33], v[32:33], v[36:37]
	v_fma_f32 v4, -v21, v23, 1.0
	v_fmac_f32_e32 v23, v4, v23
	v_div_scale_f32 v4, vcc, 1.0, v15, 1.0
	v_mul_f32_e32 v25, v4, v23
	v_mul_f32_e32 v0, v53, v32
	v_fma_f32 v27, -v21, v25, v4
	v_mul_f32_e32 v0, v0, v33
	v_fmac_f32_e32 v25, v27, v23
	v_lshlrev_b32_e32 v33, 16, v1
	v_fma_f32 v4, -v21, v25, v4
	v_mul_f32_e32 v21, 0xbfb8aa3b, v33
	v_fma_f32 v27, v33, s3, -v21
	v_rndne_f32_e32 v29, v21
	v_fmac_f32_e32 v27, 0xb2a5705f, v33
	v_sub_f32_e32 v21, v21, v29
	v_add_f32_e32 v21, v21, v27
	v_exp_f32_e32 v21, v21
	v_cvt_i32_f32_e32 v27, v29
	v_div_fmas_f32 v4, v4, v23, v25
	v_div_fixup_f32 v31, v4, v15, 1.0
	v_cmp_nlt_f32_e32 vcc, s4, v33
	v_ldexp_f32 v4, v21, v27
	v_pk_mul_f32 v[30:31], v[30:31], v[34:35]
	v_cndmask_b32_e32 v4, 0, v4, vcc
	v_cmp_ngt_f32_e32 vcc, s5, v33
	v_lshlrev_b32_e32 v32, 16, v5
	s_nop 0
	v_cndmask_b32_e32 v4, v19, v4, vcc
	v_add_f32_e32 v15, 1.0, v4
	v_div_scale_f32 v21, s[6:7], v15, v15, 1.0
	v_rcp_f32_e32 v23, v21
	v_mul_f32_e32 v4, v53, v30
	v_mul_f32_e32 v4, v4, v31
	v_and_b32_e32 v31, 0xffff0000, v1
	v_fma_f32 v25, -v21, v23, 1.0
	v_fmac_f32_e32 v23, v25, v23
	v_div_scale_f32 v25, vcc, 1.0, v15, 1.0
	v_mul_f32_e32 v27, v25, v23
	v_fma_f32 v29, -v21, v27, v25
	v_fmac_f32_e32 v27, v29, v23
	v_mul_f32_e32 v1, 0xbfb8aa3b, v31
	v_fma_f32 v21, -v21, v27, v25
	v_fma_f32 v25, v31, s3, -v1
	v_rndne_f32_e32 v29, v1
	v_fmac_f32_e32 v25, 0xb2a5705f, v31
	v_sub_f32_e32 v1, v1, v29
	v_add_f32_e32 v1, v1, v25
	v_exp_f32_e32 v1, v1
	v_cvt_i32_f32_e32 v25, v29
	v_div_fmas_f32 v21, v21, v23, v27
	v_cmp_nlt_f32_e32 vcc, s4, v31
	v_div_fixup_f32 v29, v21, v15, 1.0
	v_ldexp_f32 v1, v1, v25
	v_cndmask_b32_e32 v1, 0, v1, vcc
	v_cmp_ngt_f32_e32 vcc, s5, v31
	v_and_b32_e32 v30, 0xffff0000, v5
	v_pk_mul_f32 v[28:29], v[28:29], v[32:33]
	v_cndmask_b32_e32 v1, v19, v1, vcc
	v_add_f32_e32 v15, 1.0, v1
	v_div_scale_f32 v21, s[6:7], v15, v15, 1.0
	v_rcp_f32_e32 v23, v21
	v_mul_f32_e32 v1, v53, v28
	v_mul_f32_e32 v1, v1, v29
	v_lshlrev_b32_e32 v29, 16, v2
	v_fma_f32 v5, -v21, v23, 1.0
	v_fmac_f32_e32 v23, v5, v23
	v_div_scale_f32 v5, vcc, 1.0, v15, 1.0
	v_mul_f32_e32 v25, v5, v23
	v_fma_f32 v27, -v21, v25, v5
	v_fmac_f32_e32 v25, v27, v23
	v_fma_f32 v5, -v21, v25, v5
	v_mul_f32_e32 v21, 0xbfb8aa3b, v29
	v_fma_f32 v27, v29, s3, -v21
	v_rndne_f32_e32 v28, v21
	v_fmac_f32_e32 v27, 0xb2a5705f, v29
	v_sub_f32_e32 v21, v21, v28
	v_add_f32_e32 v21, v21, v27
	v_exp_f32_e32 v21, v21
	v_cvt_i32_f32_e32 v28, v28
	v_div_fmas_f32 v5, v5, v23, v25
	v_div_fixup_f32 v27, v5, v15, 1.0
	v_cmp_nlt_f32_e32 vcc, s4, v29
	v_ldexp_f32 v5, v21, v28
	v_pk_mul_f32 v[26:27], v[26:27], v[30:31]
	v_cndmask_b32_e32 v5, 0, v5, vcc
	v_cmp_ngt_f32_e32 vcc, s5, v29
	v_lshlrev_b32_e32 v28, 16, v6
	s_nop 0
	v_cndmask_b32_e32 v5, v19, v5, vcc
	v_add_f32_e32 v15, 1.0, v5
	v_div_scale_f32 v21, s[6:7], v15, v15, 1.0
	v_rcp_f32_e32 v23, v21
	v_mul_f32_e32 v5, v53, v26
	v_mul_f32_e32 v5, v5, v27
	v_fma_f32 v25, -v21, v23, 1.0
	v_fmac_f32_e32 v23, v25, v23
	v_div_scale_f32 v25, vcc, 1.0, v15, 1.0
	v_mul_f32_e32 v26, v25, v23
	v_fma_f32 v27, -v21, v26, v25
	v_fmac_f32_e32 v26, v27, v23
	v_and_b32_e32 v27, 0xffff0000, v2
	v_mul_f32_e32 v2, 0xbfb8aa3b, v27
	v_fma_f32 v21, -v21, v26, v25
	v_fma_f32 v25, v27, s3, -v2
	v_rndne_f32_e32 v30, v2
	v_fmac_f32_e32 v25, 0xb2a5705f, v27
	v_sub_f32_e32 v2, v2, v30
	v_add_f32_e32 v2, v2, v25
	v_exp_f32_e32 v2, v2
	v_cvt_i32_f32_e32 v30, v30
	v_div_fmas_f32 v21, v21, v23, v26
	v_cmp_nlt_f32_e32 vcc, s4, v27
	v_div_fixup_f32 v25, v21, v15, 1.0
	v_ldexp_f32 v2, v2, v30
	v_cndmask_b32_e32 v2, 0, v2, vcc
	v_cmp_ngt_f32_e32 vcc, s5, v27
	v_pk_mul_f32 v[24:25], v[24:25], v[28:29]
	v_and_b32_e32 v26, 0xffff0000, v6
	v_cndmask_b32_e32 v2, v19, v2, vcc
	v_add_f32_e32 v2, 1.0, v2
	v_div_scale_f32 v15, s[6:7], v2, v2, 1.0
	v_rcp_f32_e32 v21, v15
	v_mul_f32_e32 v23, v53, v24
	v_mul_f32_e32 v28, v23, v25
	v_lshlrev_b32_e32 v25, 16, v3
	v_fma_f32 v6, -v15, v21, 1.0
	v_fmac_f32_e32 v21, v6, v21
	v_div_scale_f32 v6, vcc, 1.0, v2, 1.0
	v_mul_f32_e32 v23, v6, v21
	v_fma_f32 v24, -v15, v23, v6
	v_fmac_f32_e32 v23, v24, v21
	v_fma_f32 v6, -v15, v23, v6
	v_mul_f32_e32 v15, 0xbfb8aa3b, v25
	v_fma_f32 v24, v25, s3, -v15
	v_rndne_f32_e32 v29, v15
	v_fmac_f32_e32 v24, 0xb2a5705f, v25
	v_sub_f32_e32 v15, v15, v29
	v_add_f32_e32 v15, v15, v24
	v_exp_f32_e32 v15, v15
	v_cvt_i32_f32_e32 v24, v29
	v_div_fmas_f32 v6, v6, v21, v23
	v_div_fixup_f32 v23, v6, v2, 1.0
	v_cmp_nlt_f32_e32 vcc, s4, v25
	v_ldexp_f32 v2, v15, v24
	v_pk_mul_f32 v[22:23], v[22:23], v[26:27]
	v_cndmask_b32_e32 v2, 0, v2, vcc
	v_cmp_ngt_f32_e32 vcc, s5, v25
	v_mul_f32_e32 v21, v53, v22
	v_mul_f32_e32 v22, v21, v23
	v_cndmask_b32_e32 v2, v19, v2, vcc
	v_add_f32_e32 v2, 1.0, v2
	v_div_scale_f32 v6, s[6:7], v2, v2, 1.0
	v_rcp_f32_e32 v15, v6
	v_and_b32_e32 v3, 0xffff0000, v3
	v_lshlrev_b32_e32 v24, 16, v7
	v_fma_f32 v21, -v6, v15, 1.0
	v_fmac_f32_e32 v15, v21, v15
	v_div_scale_f32 v21, vcc, 1.0, v2, 1.0
	v_mul_f32_e32 v23, v21, v15
	v_fma_f32 v26, -v6, v23, v21
	v_fmac_f32_e32 v23, v26, v15
	v_fma_f32 v6, -v6, v23, v21
	v_mul_f32_e32 v21, 0xbfb8aa3b, v3
	v_fma_f32 v26, v3, s3, -v21
	v_rndne_f32_e32 v27, v21
	v_fmac_f32_e32 v26, 0xb2a5705f, v3
	v_sub_f32_e32 v21, v21, v27
	v_add_f32_e32 v21, v21, v26
	v_exp_f32_e32 v26, v21
	v_cvt_i32_f32_e32 v27, v27
	v_div_fmas_f32 v6, v6, v15, v23
	v_div_fixup_f32 v21, v6, v2, 1.0
	v_cmp_nlt_f32_e32 vcc, s4, v3
	v_ldexp_f32 v2, v26, v27
	v_pk_mul_f32 v[20:21], v[20:21], v[24:25]
	v_cndmask_b32_e32 v2, 0, v2, vcc
	v_cmp_ngt_f32_e32 vcc, s5, v3
	s_mov_b32 s3, 0xff800000
	s_nop 0
	v_cndmask_b32_e32 v2, v19, v2, vcc
	v_add_f32_e32 v6, 1.0, v2
	v_div_scale_f32 v15, s[4:5], v6, v6, 1.0
	v_rcp_f32_e32 v19, v15
	v_mul_f32_e32 v2, v53, v20
	v_mul_f32_e32 v20, v2, v21
	v_and_b32_e32 v2, 0xffff0000, v7
	v_fma_f32 v7, -v15, v19, 1.0
	v_fmac_f32_e32 v19, v7, v19
	v_div_scale_f32 v7, vcc, 1.0, v6, 1.0
	v_mul_f32_e32 v21, v7, v19
	v_fma_f32 v23, -v15, v21, v7
	v_fmac_f32_e32 v21, v23, v19
	v_fma_f32 v7, -v15, v21, v7
	v_div_fmas_f32 v7, v7, v19, v21
	v_div_fixup_f32 v19, v7, v6, 1.0
	v_pk_mul_f32 v[2:3], v[18:19], v[2:3]
	s_nop 0
	v_mul_f32_e32 v2, v53, v2
	v_mul_f32_e32 v3, v2, v3
	v_max3_f32 v2, |v51|, s3, |v8|
	v_max3_f32 v2, v2, |v9|, |v12|
	v_max3_f32 v2, v2, |v10|, |v13|
	;; [unrolled: 1-line block ×7, first 2 shown]
	ds_bpermute_b32 v6, v16, v2
	s_mov_b32 s3, 0x43700000
	s_waitcnt lgkmcnt(0)
	v_max_f32_e32 v6, v6, v6
	v_max_f32_e32 v2, v2, v6
	ds_bpermute_b32 v6, v50, v2
	s_waitcnt lgkmcnt(0)
	v_max_f32_e32 v6, v6, v6
	v_max_f32_e32 v2, v2, v6
	ds_bpermute_b32 v6, v52, v2
	s_waitcnt lgkmcnt(0)
	v_max_f32_e32 v6, v6, v6
	v_max_f32_e32 v2, v2, v6
	v_div_scale_f32 v6, s[4:5], s3, s3, v2
	v_rcp_f32_e32 v7, v6
	s_mov_b32 s4, 0x2edbe6ff
	v_fma_f32 v15, -v6, v7, 1.0
	v_fmac_f32_e32 v7, v15, v7
	v_div_scale_f32 v15, vcc, v2, s3, v2
	v_mul_f32_e32 v16, v15, v7
	v_fma_f32 v18, -v6, v16, v15
	v_fmac_f32_e32 v16, v18, v7
	v_fma_f32 v6, -v6, v16, v15
	v_div_fmas_f32 v6, v6, v7, v16
	v_div_fixup_f32 v6, v6, s3, v2
	v_mov_b32_e32 v7, 0x2edbe6ff
	v_cmp_lt_f32_e32 vcc, s4, v2
	s_mul_i32 s3, s2, s21
	v_lshlrev_b32_e32 v16, 4, v49
	v_cndmask_b32_e32 v2, v7, v6, vcc
	v_div_scale_f32 v6, s[4:5], v2, v2, 1.0
	v_rcp_f32_e32 v7, v6
	s_load_dwordx2 s[4:5], s[0:1], 0x0
	v_fma_f32 v15, -v6, v7, 1.0
	v_fmac_f32_e32 v7, v15, v7
	v_div_scale_f32 v15, vcc, 1.0, v2, 1.0
	v_mul_f32_e32 v18, v15, v7
	v_fma_f32 v19, -v6, v18, v15
	v_fmac_f32_e32 v18, v19, v7
	v_fma_f32 v6, -v6, v18, v15
	v_div_fmas_f32 v6, v6, v7, v18
	v_div_fixup_f32 v15, v6, v2, 1.0
	v_add_u32_e32 v6, s3, v48
	v_mul_lo_u32 v6, v6, s22
	v_ashrrev_i32_e32 v7, 31, v6
	s_waitcnt lgkmcnt(0)
	v_lshl_add_u64 v[6:7], s[4:5], 0, v[6:7]
	s_mov_b32 s3, 0xc3700000
	v_mov_b32_e32 v19, 0x43700000
	v_lshl_add_u64 v[16:17], v[6:7], 0, v[16:17]
	v_mul_f32_e32 v7, v15, v9
	v_med3_f32 v7, v7, s3, v19
	v_mul_f32_e32 v6, v15, v8
	v_cvt_pk_fp8_f32 v8, v7, 0
	v_mul_f32_e32 v7, v15, v12
	v_med3_f32 v7, v7, s3, v19
	v_cvt_pk_fp8_f32 v9, v7, 0
	v_mul_f32_e32 v7, v15, v10
	v_mul_f32_e32 v10, v15, v13
	v_med3_f32 v10, v10, s3, v19
	v_mul_f32_e32 v12, v15, v14
	v_mul_f32_e32 v18, v15, v51
	v_med3_f32 v6, v6, s3, v19
	v_med3_f32 v7, v7, s3, v19
	v_cvt_pk_fp8_f32 v10, v10, 0
	v_mul_f32_e32 v11, v15, v11
	v_med3_f32 v12, v12, s3, v19
	v_med3_f32 v18, v18, s3, v19
	v_cvt_pk_fp8_f32 v6, v6, 0
	v_cvt_pk_fp8_f32 v7, v7, 0
	v_med3_f32 v11, v11, s3, v19
	v_cvt_pk_fp8_f32 v12, v12, 0
	v_cvt_pk_fp8_f32 v18, v18, 0
	;; [unrolled: 1-line block ×3, first 2 shown]
	v_lshlrev_b16_e32 v10, 8, v10
	v_or_b32_sdwa v7, v7, v10 dst_sel:DWORD dst_unused:UNUSED_PAD src0_sel:BYTE_0 src1_sel:DWORD
	v_lshlrev_b16_e32 v10, 8, v12
	v_lshlrev_b16_e32 v6, 8, v6
	;; [unrolled: 1-line block ×3, first 2 shown]
	v_or_b32_sdwa v10, v11, v10 dst_sel:WORD_1 dst_unused:UNUSED_PAD src0_sel:BYTE_0 src1_sel:DWORD
	v_or_b32_sdwa v6, v18, v6 dst_sel:DWORD dst_unused:UNUSED_PAD src0_sel:BYTE_0 src1_sel:DWORD
	v_or_b32_sdwa v8, v8, v9 dst_sel:WORD_1 dst_unused:UNUSED_PAD src0_sel:BYTE_0 src1_sel:DWORD
	v_mul_f32_e32 v9, v15, v22
	v_mul_f32_e32 v3, v15, v3
	v_or_b32_sdwa v7, v7, v10 dst_sel:DWORD dst_unused:UNUSED_PAD src0_sel:WORD_0 src1_sel:DWORD
	v_or_b32_sdwa v6, v6, v8 dst_sel:DWORD dst_unused:UNUSED_PAD src0_sel:WORD_0 src1_sel:DWORD
	v_mul_f32_e32 v8, v15, v28
	v_med3_f32 v9, v9, s3, v19
	v_mul_f32_e32 v10, v15, v20
	v_med3_f32 v3, v3, s3, v19
	;; [unrolled: 2-line block ×3, first 2 shown]
	v_cvt_pk_fp8_f32 v9, v9, 0
	v_med3_f32 v10, v10, s3, v19
	v_cvt_pk_fp8_f32 v3, v3, 0
	v_mul_f32_e32 v0, v15, v0
	v_med3_f32 v4, v4, s3, v19
	v_mul_f32_e32 v5, v15, v5
	v_cvt_pk_fp8_f32 v8, v8, 0
	v_cvt_pk_fp8_f32 v10, v10, 0
	v_med3_f32 v0, v0, s3, v19
	v_cvt_pk_fp8_f32 v4, v4, 0
	v_mul_f32_e32 v1, v15, v1
	v_med3_f32 v5, v5, s3, v19
	v_cvt_pk_fp8_f32 v0, v0, 0
	v_med3_f32 v1, v1, s3, v19
	v_cvt_pk_fp8_f32 v5, v5, 0
	v_cvt_pk_fp8_f32 v1, v1, 0
	v_lshlrev_b16_e32 v9, 8, v9
	v_lshlrev_b16_e32 v3, 8, v3
	v_or_b32_sdwa v8, v8, v9 dst_sel:DWORD dst_unused:UNUSED_PAD src0_sel:BYTE_0 src1_sel:DWORD
	v_or_b32_sdwa v3, v10, v3 dst_sel:WORD_1 dst_unused:UNUSED_PAD src0_sel:BYTE_0 src1_sel:DWORD
	v_cmp_eq_u32_e32 vcc, 0, v49
	v_or_b32_sdwa v9, v8, v3 dst_sel:DWORD dst_unused:UNUSED_PAD src0_sel:WORD_0 src1_sel:DWORD
	v_lshlrev_b16_e32 v3, 8, v4
	v_or_b32_sdwa v0, v0, v3 dst_sel:DWORD dst_unused:UNUSED_PAD src0_sel:BYTE_0 src1_sel:DWORD
	v_lshlrev_b16_e32 v3, 8, v5
	v_or_b32_sdwa v1, v1, v3 dst_sel:WORD_1 dst_unused:UNUSED_PAD src0_sel:BYTE_0 src1_sel:DWORD
	s_nop 0
	v_or_b32_sdwa v8, v0, v1 dst_sel:DWORD dst_unused:UNUSED_PAD src0_sel:WORD_0 src1_sel:DWORD
	global_store_dwordx4 v[16:17], v[6:9], off
	s_and_b64 exec, exec, vcc
	s_cbranch_execz .LBB1_3
; %bb.2:
	s_load_dwordx2 s[0:1], s[0:1], 0x8
	v_mul_lo_u32 v0, v48, s20
	v_add_u32_e32 v0, s2, v0
	v_ashrrev_i32_e32 v1, 31, v0
	s_waitcnt lgkmcnt(0)
	v_lshl_add_u64 v[0:1], v[0:1], 2, s[0:1]
	global_store_dword v[0:1], v2, off
.LBB1_3:
	s_endpgm
	.section	.rodata,"a",@progbits
	.p2align	6, 0x0
	.amdhsa_kernel _ZN5aiter36gated_rmsnorm_fp8_group_quant_kernelItDB8_Li128ELi16ELi256ELb1EEEvPT0_PfPKT_S7_S7_diiillll
		.amdhsa_group_segment_fixed_size 0
		.amdhsa_private_segment_fixed_size 0
		.amdhsa_kernarg_size 96
		.amdhsa_user_sgpr_count 2
		.amdhsa_user_sgpr_dispatch_ptr 0
		.amdhsa_user_sgpr_queue_ptr 0
		.amdhsa_user_sgpr_kernarg_segment_ptr 1
		.amdhsa_user_sgpr_dispatch_id 0
		.amdhsa_user_sgpr_kernarg_preload_length 0
		.amdhsa_user_sgpr_kernarg_preload_offset 0
		.amdhsa_user_sgpr_private_segment_size 0
		.amdhsa_uses_dynamic_stack 0
		.amdhsa_enable_private_segment 0
		.amdhsa_system_sgpr_workgroup_id_x 1
		.amdhsa_system_sgpr_workgroup_id_y 1
		.amdhsa_system_sgpr_workgroup_id_z 0
		.amdhsa_system_sgpr_workgroup_info 0
		.amdhsa_system_vgpr_workitem_id 0
		.amdhsa_next_free_vgpr 58
		.amdhsa_next_free_sgpr 24
		.amdhsa_accum_offset 60
		.amdhsa_reserve_vcc 1
		.amdhsa_float_round_mode_32 0
		.amdhsa_float_round_mode_16_64 0
		.amdhsa_float_denorm_mode_32 3
		.amdhsa_float_denorm_mode_16_64 3
		.amdhsa_dx10_clamp 1
		.amdhsa_ieee_mode 1
		.amdhsa_fp16_overflow 0
		.amdhsa_tg_split 0
		.amdhsa_exception_fp_ieee_invalid_op 0
		.amdhsa_exception_fp_denorm_src 0
		.amdhsa_exception_fp_ieee_div_zero 0
		.amdhsa_exception_fp_ieee_overflow 0
		.amdhsa_exception_fp_ieee_underflow 0
		.amdhsa_exception_fp_ieee_inexact 0
		.amdhsa_exception_int_div_zero 0
	.end_amdhsa_kernel
	.section	.text._ZN5aiter36gated_rmsnorm_fp8_group_quant_kernelItDB8_Li128ELi16ELi256ELb1EEEvPT0_PfPKT_S7_S7_diiillll,"axG",@progbits,_ZN5aiter36gated_rmsnorm_fp8_group_quant_kernelItDB8_Li128ELi16ELi256ELb1EEEvPT0_PfPKT_S7_S7_diiillll,comdat
.Lfunc_end1:
	.size	_ZN5aiter36gated_rmsnorm_fp8_group_quant_kernelItDB8_Li128ELi16ELi256ELb1EEEvPT0_PfPKT_S7_S7_diiillll, .Lfunc_end1-_ZN5aiter36gated_rmsnorm_fp8_group_quant_kernelItDB8_Li128ELi16ELi256ELb1EEEvPT0_PfPKT_S7_S7_diiillll
                                        ; -- End function
	.section	.AMDGPU.csdata,"",@progbits
; Kernel info:
; codeLenInByte = 4464
; NumSgprs: 30
; NumVgprs: 58
; NumAgprs: 0
; TotalNumVgprs: 58
; ScratchSize: 0
; MemoryBound: 0
; FloatMode: 240
; IeeeMode: 1
; LDSByteSize: 0 bytes/workgroup (compile time only)
; SGPRBlocks: 3
; VGPRBlocks: 7
; NumSGPRsForWavesPerEU: 30
; NumVGPRsForWavesPerEU: 58
; AccumOffset: 60
; Occupancy: 8
; WaveLimiterHint : 0
; COMPUTE_PGM_RSRC2:SCRATCH_EN: 0
; COMPUTE_PGM_RSRC2:USER_SGPR: 2
; COMPUTE_PGM_RSRC2:TRAP_HANDLER: 0
; COMPUTE_PGM_RSRC2:TGID_X_EN: 1
; COMPUTE_PGM_RSRC2:TGID_Y_EN: 1
; COMPUTE_PGM_RSRC2:TGID_Z_EN: 0
; COMPUTE_PGM_RSRC2:TIDIG_COMP_CNT: 0
; COMPUTE_PGM_RSRC3_GFX90A:ACCUM_OFFSET: 14
; COMPUTE_PGM_RSRC3_GFX90A:TG_SPLIT: 0
	.section	.text._ZN5aiter36gated_rmsnorm_fp8_group_quant_kernelItDB8_Li128ELi16ELi256ELb0EEEvPT0_PfPKT_S7_S7_diiillll,"axG",@progbits,_ZN5aiter36gated_rmsnorm_fp8_group_quant_kernelItDB8_Li128ELi16ELi256ELb0EEEvPT0_PfPKT_S7_S7_diiillll,comdat
	.protected	_ZN5aiter36gated_rmsnorm_fp8_group_quant_kernelItDB8_Li128ELi16ELi256ELb0EEEvPT0_PfPKT_S7_S7_diiillll ; -- Begin function _ZN5aiter36gated_rmsnorm_fp8_group_quant_kernelItDB8_Li128ELi16ELi256ELb0EEEvPT0_PfPKT_S7_S7_diiillll
	.globl	_ZN5aiter36gated_rmsnorm_fp8_group_quant_kernelItDB8_Li128ELi16ELi256ELb0EEEvPT0_PfPKT_S7_S7_diiillll
	.p2align	8
	.type	_ZN5aiter36gated_rmsnorm_fp8_group_quant_kernelItDB8_Li128ELi16ELi256ELb0EEEvPT0_PfPKT_S7_S7_diiillll,@function
_ZN5aiter36gated_rmsnorm_fp8_group_quant_kernelItDB8_Li128ELi16ELi256ELb0EEEvPT0_PfPKT_S7_S7_diiillll: ; @_ZN5aiter36gated_rmsnorm_fp8_group_quant_kernelItDB8_Li128ELi16ELi256ELb0EEEvPT0_PfPKT_S7_S7_diiillll
; %bb.0:
	s_load_dwordx4 s[20:23], s[0:1], 0x30
	v_lshrrev_b32_e32 v1, 3, v0
	v_and_b32_e32 v2, 0x78, v1
	v_lshl_add_u32 v2, s3, 5, v2
	v_and_or_b32 v49, v1, 7, v2
	s_waitcnt lgkmcnt(0)
	s_cmp_lt_i32 s2, s20
	s_cselect_b64 s[4:5], -1, 0
	v_cmp_gt_i32_e32 vcc, s21, v49
	s_and_b64 s[4:5], s[4:5], vcc
	s_and_saveexec_b64 s[6:7], s[4:5]
	s_cbranch_execz .LBB2_3
; %bb.1:
	s_load_dwordx8 s[12:19], s[0:1], 0x40
	s_load_dwordx8 s[4:11], s[0:1], 0x10
	v_ashrrev_i32_e32 v2, 31, v49
	v_and_b32_e32 v48, 7, v0
	s_ashr_i32 s3, s2, 31
	s_waitcnt lgkmcnt(0)
	s_mul_i32 s13, s2, s13
	s_mul_hi_u32 s20, s2, s12
	v_mul_lo_u32 v3, v49, s15
	v_mul_lo_u32 v4, v2, s14
	v_mad_u64_u32 v[0:1], s[14:15], v49, s14, 0
	s_add_i32 s13, s20, s13
	s_mul_i32 s20, s3, s12
	s_mul_i32 s14, s2, s17
	s_mul_hi_u32 s15, s2, s16
	s_add_i32 s13, s13, s20
	s_mul_i32 s12, s2, s12
	s_add_i32 s14, s15, s14
	s_mul_i32 s3, s3, s16
	s_add_i32 s15, s14, s3
	s_lshl_b64 s[12:13], s[12:13], 1
	s_add_u32 s4, s4, s12
	v_add3_u32 v1, v1, v3, v4
	s_addc_u32 s5, s5, s13
	v_mov_b32_e32 v17, 0
	v_lshl_add_u64 v[0:1], v[0:1], 1, s[4:5]
	v_lshlrev_b32_e32 v4, 5, v48
	v_mov_b32_e32 v5, v17
	v_lshl_add_u64 v[0:1], v[0:1], 0, v[4:5]
	global_load_dwordx4 v[12:15], v[0:1], off
	global_load_dwordx4 v[18:21], v[0:1], off offset:16
	s_mul_i32 s14, s2, s16
	v_mad_u64_u32 v[0:1], s[4:5], v49, s18, 0
	s_lshl_b64 s[4:5], s[14:15], 1
	v_mul_lo_u32 v3, v49, s19
	v_mul_lo_u32 v2, v2, s18
	s_add_u32 s4, s6, s4
	v_add3_u32 v1, v1, v3, v2
	s_addc_u32 s5, s7, s5
	v_lshl_add_u64 v[0:1], v[0:1], 1, s[4:5]
	v_lshl_add_u64 v[0:1], v[0:1], 0, v[4:5]
	global_load_dwordx4 v[8:11], v[0:1], off
	s_mov_b32 s3, 0xbfb8aa3b
	v_mbcnt_lo_u32_b32 v2, -1, 0
	v_mbcnt_hi_u32_b32 v5, -1, v2
	v_and_b32_e32 v2, 64, v5
	v_xor_b32_e32 v3, 4, v5
	v_add_u32_e32 v7, 64, v2
	v_cmp_lt_i32_e32 vcc, v3, v7
	v_xor_b32_e32 v6, 2, v5
	s_mov_b32 s4, 0x42ce8ed0
	v_cndmask_b32_e32 v2, v5, v3, vcc
	v_lshlrev_b32_e32 v16, 2, v2
	v_cmp_lt_i32_e32 vcc, v6, v7
	s_mov_b32 s5, 0xc2b17218
	global_load_dwordx4 v[0:3], v[0:1], off offset:16
	v_cndmask_b32_e32 v6, v5, v6, vcc
	v_lshlrev_b32_e32 v50, 2, v6
	s_mul_i32 s2, s2, s21
	s_waitcnt vmcnt(3)
	v_lshlrev_b32_e32 v54, 16, v12
	v_and_b32_e32 v46, 0xffff0000, v12
	v_mul_f32_e32 v12, v54, v54
	v_lshlrev_b32_e32 v44, 16, v13
	v_and_b32_e32 v42, 0xffff0000, v13
	v_mul_f32_e32 v13, v46, v46
	v_add_f32_e32 v12, 0, v12
	v_lshlrev_b32_e32 v40, 16, v14
	v_and_b32_e32 v38, 0xffff0000, v14
	v_mul_f32_e32 v14, v44, v44
	v_add_f32_e32 v12, v12, v13
	;; [unrolled: 4-line block ×3, first 2 shown]
	s_waitcnt vmcnt(2)
	v_lshlrev_b32_e32 v28, 16, v19
	v_and_b32_e32 v26, 0xffff0000, v19
	v_mul_f32_e32 v19, v40, v40
	v_add_f32_e32 v12, v12, v15
	v_lshlrev_b32_e32 v32, 16, v18
	v_and_b32_e32 v30, 0xffff0000, v18
	v_lshlrev_b32_e32 v24, 16, v20
	v_and_b32_e32 v22, 0xffff0000, v20
	v_lshlrev_b32_e32 v20, 16, v21
	v_and_b32_e32 v18, 0xffff0000, v21
	v_mul_f32_e32 v21, v38, v38
	s_waitcnt vmcnt(1)
	v_lshlrev_b32_e32 v57, 16, v8
	v_add_f32_e32 v12, v12, v19
	v_mul_f32_e32 v23, v36, v36
	v_mul_f32_e32 v13, 0xbfb8aa3b, v57
	v_add_f32_e32 v12, v12, v21
	v_mul_f32_e32 v25, v34, v34
	v_fma_f32 v14, v57, s3, -v13
	v_rndne_f32_e32 v15, v13
	v_add_f32_e32 v12, v12, v23
	v_mul_f32_e32 v27, v32, v32
	v_fmac_f32_e32 v14, 0xb2a5705f, v57
	v_sub_f32_e32 v13, v13, v15
	v_add_f32_e32 v12, v12, v25
	v_add_f32_e32 v13, v13, v14
	v_mul_f32_e32 v14, v30, v30
	v_add_f32_e32 v12, v12, v27
	v_mul_f32_e32 v19, v28, v28
	;; [unrolled: 2-line block ×7, first 2 shown]
	v_cvt_i32_f32_e32 v15, v15
	v_exp_f32_e32 v13, v13
	v_add_f32_e32 v12, v12, v14
	v_add_f32_e32 v12, v12, v19
	ds_bpermute_b32 v14, v16, v12
	v_ldexp_f32 v6, v13, v15
	v_cmp_nlt_f32_e32 vcc, s4, v57
	v_mov_b32_e32 v19, 0x7f800000
	s_waitcnt lgkmcnt(0)
	v_add_f32_e32 v12, v12, v14
	v_cndmask_b32_e32 v6, 0, v6, vcc
	v_cmp_ngt_f32_e32 vcc, s5, v57
	ds_bpermute_b32 v13, v50, v12
	s_waitcnt lgkmcnt(0)
	v_add_f32_e32 v21, v12, v13
	v_cndmask_b32_e32 v6, v19, v6, vcc
	v_add_f32_e32 v6, 1.0, v6
	v_div_scale_f32 v14, s[6:7], v6, v6, 1.0
	v_rcp_f32_e32 v15, v14
	s_mov_b32 s6, 0x800000
	v_fma_f32 v12, -v14, v15, 1.0
	v_fmac_f32_e32 v15, v12, v15
	v_div_scale_f32 v12, vcc, 1.0, v6, 1.0
	v_mul_f32_e32 v13, v12, v15
	v_fma_f32 v23, -v14, v13, v12
	v_fmac_f32_e32 v13, v23, v15
	v_fma_f32 v12, -v14, v13, v12
	v_div_fmas_f32 v25, v12, v15, v13
	global_load_dwordx4 v[12:15], v4, s[8:9]
	v_xor_b32_e32 v23, 1, v5
	v_cmp_lt_i32_e32 vcc, v23, v7
	v_cvt_f32_f64_e32 v7, s[10:11]
	v_div_fixup_f32 v55, v25, v6, 1.0
	v_cndmask_b32_e32 v5, v5, v23, vcc
	v_lshlrev_b32_e32 v52, 2, v5
	ds_bpermute_b32 v5, v52, v21
	s_waitcnt lgkmcnt(0)
	v_add_f32_e32 v5, v21, v5
	v_fmamk_f32 v5, v5, 0x3c000000, v7
	v_mul_f32_e32 v7, 0x4b800000, v5
	v_cmp_gt_f32_e32 vcc, s6, v5
	s_waitcnt vmcnt(0)
	v_lshlrev_b32_e32 v56, 16, v12
	v_cndmask_b32_e32 v5, v5, v7, vcc
	v_rsq_f32_e32 v21, v5
	v_pk_mul_f32 v[54:55], v[54:55], v[56:57]
	global_load_dwordx4 v[4:7], v4, s[8:9] offset:16
	v_mul_f32_e32 v23, 0x45800000, v21
	v_cndmask_b32_e32 v53, v21, v23, vcc
	v_mul_f32_e32 v21, v53, v54
	v_mul_f32_e32 v51, v21, v55
	v_and_b32_e32 v55, 0xffff0000, v8
	v_mul_f32_e32 v8, 0xbfb8aa3b, v55
	v_fma_f32 v21, v55, s3, -v8
	v_rndne_f32_e32 v23, v8
	v_fmac_f32_e32 v21, 0xb2a5705f, v55
	v_sub_f32_e32 v8, v8, v23
	v_add_f32_e32 v8, v8, v21
	v_exp_f32_e32 v8, v8
	v_cvt_i32_f32_e32 v21, v23
	v_cmp_nlt_f32_e32 vcc, s4, v55
	v_and_b32_e32 v54, 0xffff0000, v12
	v_ldexp_f32 v8, v8, v21
	v_cndmask_b32_e32 v8, 0, v8, vcc
	v_cmp_ngt_f32_e32 vcc, s5, v55
	s_nop 1
	v_cndmask_b32_e32 v8, v19, v8, vcc
	v_add_f32_e32 v8, 1.0, v8
	v_div_scale_f32 v21, s[6:7], v8, v8, 1.0
	v_rcp_f32_e32 v23, v21
	s_nop 0
	v_fma_f32 v25, -v21, v23, 1.0
	v_fmac_f32_e32 v23, v25, v23
	v_div_scale_f32 v25, vcc, 1.0, v8, 1.0
	v_mul_f32_e32 v27, v25, v23
	v_fma_f32 v29, -v21, v27, v25
	v_fmac_f32_e32 v27, v29, v23
	v_fma_f32 v21, -v21, v27, v25
	v_div_fmas_f32 v21, v21, v23, v27
	v_div_fixup_f32 v47, v21, v8, 1.0
	v_pk_mul_f32 v[46:47], v[46:47], v[54:55]
	s_nop 0
	v_mul_f32_e32 v8, v53, v46
	v_mul_f32_e32 v8, v8, v47
	v_lshlrev_b32_e32 v47, 16, v9
	v_mul_f32_e32 v12, 0xbfb8aa3b, v47
	v_fma_f32 v21, v47, s3, -v12
	v_rndne_f32_e32 v23, v12
	v_fmac_f32_e32 v21, 0xb2a5705f, v47
	v_sub_f32_e32 v12, v12, v23
	v_add_f32_e32 v12, v12, v21
	v_exp_f32_e32 v12, v12
	v_cvt_i32_f32_e32 v21, v23
	v_cmp_nlt_f32_e32 vcc, s4, v47
	v_lshlrev_b32_e32 v46, 16, v13
	v_ldexp_f32 v12, v12, v21
	v_cndmask_b32_e32 v12, 0, v12, vcc
	v_cmp_ngt_f32_e32 vcc, s5, v47
	s_nop 1
	v_cndmask_b32_e32 v12, v19, v12, vcc
	v_add_f32_e32 v12, 1.0, v12
	v_div_scale_f32 v21, s[6:7], v12, v12, 1.0
	v_rcp_f32_e32 v23, v21
	s_nop 0
	v_fma_f32 v25, -v21, v23, 1.0
	v_fmac_f32_e32 v23, v25, v23
	v_div_scale_f32 v25, vcc, 1.0, v12, 1.0
	v_mul_f32_e32 v27, v25, v23
	v_fma_f32 v29, -v21, v27, v25
	v_fmac_f32_e32 v27, v29, v23
	v_fma_f32 v21, -v21, v27, v25
	v_div_fmas_f32 v21, v21, v23, v27
	v_div_fixup_f32 v45, v21, v12, 1.0
	v_pk_mul_f32 v[44:45], v[44:45], v[46:47]
	v_and_b32_e32 v47, 0xffff0000, v9
	v_mul_f32_e32 v9, 0xbfb8aa3b, v47
	v_fma_f32 v12, v47, s3, -v9
	v_rndne_f32_e32 v21, v9
	v_fmac_f32_e32 v12, 0xb2a5705f, v47
	v_sub_f32_e32 v9, v9, v21
	v_add_f32_e32 v9, v9, v12
	v_exp_f32_e32 v12, v9
	v_cvt_i32_f32_e32 v21, v21
	v_cmp_nlt_f32_e32 vcc, s4, v47
	v_mul_f32_e32 v9, v53, v44
	v_mul_f32_e32 v9, v9, v45
	v_ldexp_f32 v12, v12, v21
	v_cndmask_b32_e32 v12, 0, v12, vcc
	v_cmp_ngt_f32_e32 vcc, s5, v47
	v_lshlrev_b32_e32 v45, 16, v10
	v_and_b32_e32 v46, 0xffff0000, v13
	v_cndmask_b32_e32 v12, v19, v12, vcc
	v_add_f32_e32 v12, 1.0, v12
	v_div_scale_f32 v21, s[6:7], v12, v12, 1.0
	v_rcp_f32_e32 v23, v21
	v_lshlrev_b32_e32 v44, 16, v14
	v_fma_f32 v25, -v21, v23, 1.0
	v_fmac_f32_e32 v23, v25, v23
	v_div_scale_f32 v25, vcc, 1.0, v12, 1.0
	v_mul_f32_e32 v27, v25, v23
	v_fma_f32 v29, -v21, v27, v25
	v_fmac_f32_e32 v27, v29, v23
	v_fma_f32 v21, -v21, v27, v25
	v_div_fmas_f32 v21, v21, v23, v27
	v_div_fixup_f32 v43, v21, v12, 1.0
	v_mul_f32_e32 v12, 0xbfb8aa3b, v45
	v_fma_f32 v21, v45, s3, -v12
	v_rndne_f32_e32 v23, v12
	v_fmac_f32_e32 v21, 0xb2a5705f, v45
	v_sub_f32_e32 v12, v12, v23
	v_add_f32_e32 v12, v12, v21
	v_exp_f32_e32 v21, v12
	v_cvt_i32_f32_e32 v23, v23
	v_cmp_nlt_f32_e32 vcc, s4, v45
	v_pk_mul_f32 v[12:13], v[42:43], v[46:47]
	v_and_b32_e32 v43, 0xffff0000, v10
	v_ldexp_f32 v21, v21, v23
	v_cndmask_b32_e32 v21, 0, v21, vcc
	v_cmp_ngt_f32_e32 vcc, s5, v45
	v_mul_f32_e32 v12, v53, v12
	v_mul_f32_e32 v12, v12, v13
	v_cndmask_b32_e32 v21, v19, v21, vcc
	v_add_f32_e32 v21, 1.0, v21
	v_div_scale_f32 v23, s[6:7], v21, v21, 1.0
	v_rcp_f32_e32 v25, v23
	v_mul_f32_e32 v10, 0xbfb8aa3b, v43
	v_and_b32_e32 v42, 0xffff0000, v14
	v_fma_f32 v13, -v23, v25, 1.0
	v_fmac_f32_e32 v25, v13, v25
	v_div_scale_f32 v13, vcc, 1.0, v21, 1.0
	v_mul_f32_e32 v27, v13, v25
	v_fma_f32 v29, -v23, v27, v13
	v_fmac_f32_e32 v27, v29, v25
	v_fma_f32 v13, -v23, v27, v13
	v_div_fmas_f32 v13, v13, v25, v27
	v_div_fixup_f32 v41, v13, v21, 1.0
	v_fma_f32 v13, v43, s3, -v10
	v_rndne_f32_e32 v21, v10
	v_fmac_f32_e32 v13, 0xb2a5705f, v43
	v_sub_f32_e32 v10, v10, v21
	v_add_f32_e32 v10, v10, v13
	v_exp_f32_e32 v10, v10
	v_cvt_i32_f32_e32 v13, v21
	v_cmp_nlt_f32_e32 vcc, s4, v43
	v_pk_mul_f32 v[40:41], v[40:41], v[44:45]
	v_ldexp_f32 v10, v10, v13
	v_cndmask_b32_e32 v10, 0, v10, vcc
	v_cmp_ngt_f32_e32 vcc, s5, v43
	s_nop 1
	v_cndmask_b32_e32 v10, v19, v10, vcc
	v_add_f32_e32 v13, 1.0, v10
	v_div_scale_f32 v21, s[6:7], v13, v13, 1.0
	v_rcp_f32_e32 v23, v21
	v_mul_f32_e32 v10, v53, v40
	v_mul_f32_e32 v10, v10, v41
	v_lshlrev_b32_e32 v41, 16, v11
	v_fma_f32 v25, -v21, v23, 1.0
	v_fmac_f32_e32 v23, v25, v23
	v_div_scale_f32 v25, vcc, 1.0, v13, 1.0
	v_mul_f32_e32 v27, v25, v23
	v_fma_f32 v29, -v21, v27, v25
	v_fmac_f32_e32 v27, v29, v23
	v_fma_f32 v21, -v21, v27, v25
	v_div_fmas_f32 v21, v21, v23, v27
	v_mul_f32_e32 v23, 0xbfb8aa3b, v41
	v_fma_f32 v25, v41, s3, -v23
	v_rndne_f32_e32 v27, v23
	v_fmac_f32_e32 v25, 0xb2a5705f, v41
	v_sub_f32_e32 v23, v23, v27
	v_add_f32_e32 v23, v23, v25
	v_exp_f32_e32 v23, v23
	v_cvt_i32_f32_e32 v25, v27
	v_div_fixup_f32 v39, v21, v13, 1.0
	v_cmp_nlt_f32_e32 vcc, s4, v41
	v_pk_mul_f32 v[38:39], v[38:39], v[42:43]
	v_ldexp_f32 v13, v23, v25
	v_cndmask_b32_e32 v13, 0, v13, vcc
	v_cmp_ngt_f32_e32 vcc, s5, v41
	v_lshlrev_b32_e32 v40, 16, v15
	s_nop 0
	v_cndmask_b32_e32 v13, v19, v13, vcc
	v_add_f32_e32 v14, 1.0, v13
	v_div_scale_f32 v21, s[6:7], v14, v14, 1.0
	v_rcp_f32_e32 v23, v21
	v_mul_f32_e32 v13, v53, v38
	v_mul_f32_e32 v13, v13, v39
	v_and_b32_e32 v39, 0xffff0000, v11
	v_fma_f32 v25, -v21, v23, 1.0
	v_fmac_f32_e32 v23, v25, v23
	v_div_scale_f32 v25, vcc, 1.0, v14, 1.0
	v_mul_f32_e32 v27, v25, v23
	v_fma_f32 v29, -v21, v27, v25
	v_fmac_f32_e32 v27, v29, v23
	v_mul_f32_e32 v11, 0xbfb8aa3b, v39
	v_fma_f32 v21, -v21, v27, v25
	v_fma_f32 v25, v39, s3, -v11
	v_rndne_f32_e32 v29, v11
	v_fmac_f32_e32 v25, 0xb2a5705f, v39
	v_sub_f32_e32 v11, v11, v29
	v_add_f32_e32 v11, v11, v25
	v_exp_f32_e32 v11, v11
	v_cvt_i32_f32_e32 v25, v29
	v_div_fmas_f32 v21, v21, v23, v27
	v_cmp_nlt_f32_e32 vcc, s4, v39
	v_div_fixup_f32 v37, v21, v14, 1.0
	v_ldexp_f32 v11, v11, v25
	v_cndmask_b32_e32 v11, 0, v11, vcc
	v_cmp_ngt_f32_e32 vcc, s5, v39
	v_and_b32_e32 v38, 0xffff0000, v15
	v_pk_mul_f32 v[36:37], v[36:37], v[40:41]
	v_cndmask_b32_e32 v11, v19, v11, vcc
	v_add_f32_e32 v14, 1.0, v11
	v_div_scale_f32 v21, s[6:7], v14, v14, 1.0
	v_rcp_f32_e32 v23, v21
	v_mul_f32_e32 v11, v53, v36
	v_mul_f32_e32 v11, v11, v37
	v_lshlrev_b32_e32 v37, 16, v0
	v_fma_f32 v15, -v21, v23, 1.0
	v_fmac_f32_e32 v23, v15, v23
	v_div_scale_f32 v15, vcc, 1.0, v14, 1.0
	v_mul_f32_e32 v25, v15, v23
	v_fma_f32 v27, -v21, v25, v15
	v_fmac_f32_e32 v25, v27, v23
	v_fma_f32 v15, -v21, v25, v15
	v_mul_f32_e32 v21, 0xbfb8aa3b, v37
	v_fma_f32 v27, v37, s3, -v21
	v_rndne_f32_e32 v29, v21
	v_fmac_f32_e32 v27, 0xb2a5705f, v37
	v_sub_f32_e32 v21, v21, v29
	v_add_f32_e32 v21, v21, v27
	v_exp_f32_e32 v21, v21
	v_cvt_i32_f32_e32 v27, v29
	v_div_fmas_f32 v15, v15, v23, v25
	v_cmp_nlt_f32_e32 vcc, s4, v37
	v_div_fixup_f32 v35, v15, v14, 1.0
	v_ldexp_f32 v21, v21, v27
	v_cndmask_b32_e32 v21, 0, v21, vcc
	v_cmp_ngt_f32_e32 vcc, s5, v37
	v_pk_mul_f32 v[14:15], v[34:35], v[38:39]
	v_and_b32_e32 v35, 0xffff0000, v0
	v_cndmask_b32_e32 v21, v19, v21, vcc
	v_add_f32_e32 v21, 1.0, v21
	v_div_scale_f32 v23, s[6:7], v21, v21, 1.0
	v_rcp_f32_e32 v25, v23
	v_mul_f32_e32 v14, v53, v14
	v_mul_f32_e32 v14, v14, v15
	v_mul_f32_e32 v0, 0xbfb8aa3b, v35
	v_fma_f32 v15, -v23, v25, 1.0
	v_fmac_f32_e32 v25, v15, v25
	v_div_scale_f32 v15, vcc, 1.0, v21, 1.0
	v_mul_f32_e32 v27, v15, v25
	v_fma_f32 v29, -v23, v27, v15
	v_fmac_f32_e32 v27, v29, v25
	v_fma_f32 v15, -v23, v27, v15
	v_fma_f32 v23, v35, s3, -v0
	v_rndne_f32_e32 v29, v0
	v_fmac_f32_e32 v23, 0xb2a5705f, v35
	v_sub_f32_e32 v0, v0, v29
	v_add_f32_e32 v0, v0, v23
	v_exp_f32_e32 v0, v0
	v_cvt_i32_f32_e32 v23, v29
	v_div_fmas_f32 v15, v15, v25, v27
	v_cmp_nlt_f32_e32 vcc, s4, v35
	v_div_fixup_f32 v33, v15, v21, 1.0
	v_ldexp_f32 v0, v0, v23
	v_cndmask_b32_e32 v0, 0, v0, vcc
	v_cmp_ngt_f32_e32 vcc, s5, v35
	s_waitcnt vmcnt(0)
	v_lshlrev_b32_e32 v36, 16, v4
	v_and_b32_e32 v34, 0xffff0000, v4
	v_cndmask_b32_e32 v0, v19, v0, vcc
	v_add_f32_e32 v0, 1.0, v0
	v_div_scale_f32 v21, s[6:7], v0, v0, 1.0
	v_rcp_f32_e32 v23, v21
	v_pk_mul_f32 v[32:33], v[32:33], v[36:37]
	v_fma_f32 v4, -v21, v23, 1.0
	v_fmac_f32_e32 v23, v4, v23
	v_div_scale_f32 v4, vcc, 1.0, v0, 1.0
	v_mul_f32_e32 v25, v4, v23
	v_mul_f32_e32 v15, v53, v32
	v_fma_f32 v27, -v21, v25, v4
	v_mul_f32_e32 v15, v15, v33
	v_fmac_f32_e32 v25, v27, v23
	v_lshlrev_b32_e32 v33, 16, v1
	v_fma_f32 v4, -v21, v25, v4
	v_mul_f32_e32 v21, 0xbfb8aa3b, v33
	v_fma_f32 v27, v33, s3, -v21
	v_rndne_f32_e32 v29, v21
	v_fmac_f32_e32 v27, 0xb2a5705f, v33
	v_sub_f32_e32 v21, v21, v29
	v_add_f32_e32 v21, v21, v27
	v_exp_f32_e32 v21, v21
	v_cvt_i32_f32_e32 v27, v29
	v_div_fmas_f32 v4, v4, v23, v25
	v_div_fixup_f32 v31, v4, v0, 1.0
	v_cmp_nlt_f32_e32 vcc, s4, v33
	v_ldexp_f32 v0, v21, v27
	v_pk_mul_f32 v[30:31], v[30:31], v[34:35]
	v_cndmask_b32_e32 v0, 0, v0, vcc
	v_cmp_ngt_f32_e32 vcc, s5, v33
	v_mul_f32_e32 v4, v53, v30
	v_mul_f32_e32 v4, v4, v31
	v_cndmask_b32_e32 v0, v19, v0, vcc
	v_add_f32_e32 v0, 1.0, v0
	v_div_scale_f32 v21, s[6:7], v0, v0, 1.0
	v_rcp_f32_e32 v23, v21
	v_and_b32_e32 v31, 0xffff0000, v1
	v_mul_f32_e32 v1, 0xbfb8aa3b, v31
	v_lshlrev_b32_e32 v32, 16, v5
	v_fma_f32 v25, -v21, v23, 1.0
	v_fmac_f32_e32 v23, v25, v23
	v_div_scale_f32 v25, vcc, 1.0, v0, 1.0
	v_mul_f32_e32 v27, v25, v23
	v_fma_f32 v29, -v21, v27, v25
	v_fmac_f32_e32 v27, v29, v23
	v_fma_f32 v21, -v21, v27, v25
	v_fma_f32 v25, v31, s3, -v1
	v_rndne_f32_e32 v29, v1
	v_fmac_f32_e32 v25, 0xb2a5705f, v31
	v_sub_f32_e32 v1, v1, v29
	v_add_f32_e32 v1, v1, v25
	v_exp_f32_e32 v25, v1
	v_cvt_i32_f32_e32 v30, v29
	v_div_fmas_f32 v1, v21, v23, v27
	v_cmp_nlt_f32_e32 vcc, s4, v31
	v_div_fixup_f32 v29, v1, v0, 1.0
	v_ldexp_f32 v21, v25, v30
	v_cndmask_b32_e32 v21, 0, v21, vcc
	v_cmp_ngt_f32_e32 vcc, s5, v31
	v_pk_mul_f32 v[0:1], v[28:29], v[32:33]
	v_and_b32_e32 v30, 0xffff0000, v5
	v_cndmask_b32_e32 v21, v19, v21, vcc
	v_add_f32_e32 v21, 1.0, v21
	v_div_scale_f32 v23, s[6:7], v21, v21, 1.0
	v_rcp_f32_e32 v25, v23
	v_mul_f32_e32 v0, v53, v0
	v_mul_f32_e32 v1, v0, v1
	v_lshlrev_b32_e32 v29, 16, v2
	v_fma_f32 v0, -v23, v25, 1.0
	v_fmac_f32_e32 v25, v0, v25
	v_div_scale_f32 v0, vcc, 1.0, v21, 1.0
	v_mul_f32_e32 v5, v0, v25
	v_fma_f32 v27, -v23, v5, v0
	v_fmac_f32_e32 v5, v27, v25
	v_fma_f32 v0, -v23, v5, v0
	v_mul_f32_e32 v23, 0xbfb8aa3b, v29
	v_fma_f32 v27, v29, s3, -v23
	v_rndne_f32_e32 v28, v23
	v_fmac_f32_e32 v27, 0xb2a5705f, v29
	v_sub_f32_e32 v23, v23, v28
	v_add_f32_e32 v23, v23, v27
	v_exp_f32_e32 v23, v23
	v_cvt_i32_f32_e32 v28, v28
	v_div_fmas_f32 v0, v0, v25, v5
	v_div_fixup_f32 v27, v0, v21, 1.0
	v_cmp_nlt_f32_e32 vcc, s4, v29
	v_ldexp_f32 v0, v23, v28
	v_pk_mul_f32 v[26:27], v[26:27], v[30:31]
	v_cndmask_b32_e32 v0, 0, v0, vcc
	v_cmp_ngt_f32_e32 vcc, s5, v29
	v_mul_f32_e32 v5, v53, v26
	v_mul_f32_e32 v5, v5, v27
	v_cndmask_b32_e32 v0, v19, v0, vcc
	v_add_f32_e32 v0, 1.0, v0
	v_div_scale_f32 v21, s[6:7], v0, v0, 1.0
	v_rcp_f32_e32 v23, v21
	v_lshlrev_b32_e32 v28, 16, v6
	v_fma_f32 v25, -v21, v23, 1.0
	v_fmac_f32_e32 v23, v25, v23
	v_div_scale_f32 v25, vcc, 1.0, v0, 1.0
	v_mul_f32_e32 v26, v25, v23
	v_fma_f32 v27, -v21, v26, v25
	v_fmac_f32_e32 v26, v27, v23
	v_and_b32_e32 v27, 0xffff0000, v2
	v_mul_f32_e32 v2, 0xbfb8aa3b, v27
	v_fma_f32 v21, -v21, v26, v25
	v_fma_f32 v25, v27, s3, -v2
	v_rndne_f32_e32 v30, v2
	v_fmac_f32_e32 v25, 0xb2a5705f, v27
	v_sub_f32_e32 v2, v2, v30
	v_add_f32_e32 v2, v2, v25
	v_exp_f32_e32 v2, v2
	v_cvt_i32_f32_e32 v30, v30
	v_div_fmas_f32 v21, v21, v23, v26
	v_div_fixup_f32 v25, v21, v0, 1.0
	v_cmp_nlt_f32_e32 vcc, s4, v27
	v_ldexp_f32 v0, v2, v30
	v_pk_mul_f32 v[24:25], v[24:25], v[28:29]
	v_cndmask_b32_e32 v0, 0, v0, vcc
	v_cmp_ngt_f32_e32 vcc, s5, v27
	v_and_b32_e32 v26, 0xffff0000, v6
	v_mul_f32_e32 v23, v53, v24
	v_cndmask_b32_e32 v0, v19, v0, vcc
	v_add_f32_e32 v0, 1.0, v0
	v_div_scale_f32 v2, s[6:7], v0, v0, 1.0
	v_rcp_f32_e32 v21, v2
	v_mul_f32_e32 v28, v23, v25
	v_lshlrev_b32_e32 v25, 16, v3
	v_and_b32_e32 v3, 0xffff0000, v3
	v_fma_f32 v6, -v2, v21, 1.0
	v_fmac_f32_e32 v21, v6, v21
	v_div_scale_f32 v6, vcc, 1.0, v0, 1.0
	v_mul_f32_e32 v23, v6, v21
	v_fma_f32 v24, -v2, v23, v6
	v_fmac_f32_e32 v23, v24, v21
	v_fma_f32 v2, -v2, v23, v6
	v_mul_f32_e32 v6, 0xbfb8aa3b, v25
	v_fma_f32 v24, v25, s3, -v6
	v_rndne_f32_e32 v29, v6
	v_fmac_f32_e32 v24, 0xb2a5705f, v25
	v_sub_f32_e32 v6, v6, v29
	v_add_f32_e32 v6, v6, v24
	v_exp_f32_e32 v6, v6
	v_cvt_i32_f32_e32 v24, v29
	v_div_fmas_f32 v2, v2, v21, v23
	v_div_fixup_f32 v23, v2, v0, 1.0
	v_cmp_nlt_f32_e32 vcc, s4, v25
	v_ldexp_f32 v0, v6, v24
	v_pk_mul_f32 v[22:23], v[22:23], v[26:27]
	v_cndmask_b32_e32 v0, 0, v0, vcc
	v_cmp_ngt_f32_e32 vcc, s5, v25
	v_mul_f32_e32 v21, v53, v22
	v_mul_f32_e32 v22, v21, v23
	v_cndmask_b32_e32 v0, v19, v0, vcc
	v_add_f32_e32 v0, 1.0, v0
	v_div_scale_f32 v2, s[6:7], v0, v0, 1.0
	v_rcp_f32_e32 v6, v2
	v_lshlrev_b32_e32 v24, 16, v7
	v_fma_f32 v21, -v2, v6, 1.0
	v_fmac_f32_e32 v6, v21, v6
	v_div_scale_f32 v21, vcc, 1.0, v0, 1.0
	v_mul_f32_e32 v23, v21, v6
	v_fma_f32 v26, -v2, v23, v21
	v_fmac_f32_e32 v23, v26, v6
	v_fma_f32 v2, -v2, v23, v21
	v_mul_f32_e32 v21, 0xbfb8aa3b, v3
	v_fma_f32 v26, v3, s3, -v21
	v_rndne_f32_e32 v27, v21
	v_fmac_f32_e32 v26, 0xb2a5705f, v3
	v_sub_f32_e32 v21, v21, v27
	v_add_f32_e32 v21, v21, v26
	v_exp_f32_e32 v26, v21
	v_cvt_i32_f32_e32 v27, v27
	v_div_fmas_f32 v2, v2, v6, v23
	v_div_fixup_f32 v21, v2, v0, 1.0
	v_cmp_nlt_f32_e32 vcc, s4, v3
	v_ldexp_f32 v0, v26, v27
	v_pk_mul_f32 v[20:21], v[20:21], v[24:25]
	v_cndmask_b32_e32 v0, 0, v0, vcc
	v_cmp_ngt_f32_e32 vcc, s5, v3
	v_mul_f32_e32 v2, v53, v20
	v_mul_f32_e32 v20, v2, v21
	v_cndmask_b32_e32 v0, v19, v0, vcc
	v_add_f32_e32 v0, 1.0, v0
	v_div_scale_f32 v6, s[4:5], v0, v0, 1.0
	v_rcp_f32_e32 v19, v6
	v_and_b32_e32 v2, 0xffff0000, v7
	s_mov_b32 s3, 0xff800000
	v_fma_f32 v7, -v6, v19, 1.0
	v_fmac_f32_e32 v19, v7, v19
	v_div_scale_f32 v7, vcc, 1.0, v0, 1.0
	v_mul_f32_e32 v21, v7, v19
	v_fma_f32 v23, -v6, v21, v7
	v_fmac_f32_e32 v21, v23, v19
	v_fma_f32 v6, -v6, v21, v7
	v_div_fmas_f32 v6, v6, v19, v21
	v_div_fixup_f32 v19, v6, v0, 1.0
	v_pk_mul_f32 v[2:3], v[18:19], v[2:3]
	v_mov_b32_e32 v21, 0x43700000
	v_mul_f32_e32 v0, v53, v2
	v_mul_f32_e32 v3, v0, v3
	v_max3_f32 v0, |v51|, s3, |v8|
	v_max3_f32 v0, v0, |v9|, |v12|
	v_max3_f32 v0, v0, |v10|, |v13|
	;; [unrolled: 1-line block ×7, first 2 shown]
	ds_bpermute_b32 v2, v16, v0
	s_mov_b32 s3, 0x43700000
	s_waitcnt lgkmcnt(0)
	v_max_f32_e32 v2, v2, v2
	v_max_f32_e32 v0, v0, v2
	ds_bpermute_b32 v2, v50, v0
	s_waitcnt lgkmcnt(0)
	v_max_f32_e32 v2, v2, v2
	v_max_f32_e32 v0, v0, v2
	ds_bpermute_b32 v2, v52, v0
	s_waitcnt lgkmcnt(0)
	v_max_f32_e32 v2, v2, v2
	v_max_f32_e32 v0, v0, v2
	v_div_scale_f32 v2, s[4:5], s3, s3, v0
	v_rcp_f32_e32 v6, v2
	s_mov_b32 s4, 0x2edbe6ff
	v_fma_f32 v7, -v2, v6, 1.0
	v_fmac_f32_e32 v6, v7, v6
	v_div_scale_f32 v7, vcc, v0, s3, v0
	v_mul_f32_e32 v16, v7, v6
	v_fma_f32 v18, -v2, v16, v7
	v_fmac_f32_e32 v16, v18, v6
	v_fma_f32 v2, -v2, v16, v7
	v_div_fmas_f32 v2, v2, v6, v16
	v_div_fixup_f32 v2, v2, s3, v0
	v_mov_b32_e32 v6, 0x2edbe6ff
	v_cmp_lt_f32_e32 vcc, s4, v0
	v_lshlrev_b32_e32 v16, 4, v48
	s_nop 0
	v_cndmask_b32_e32 v2, v6, v2, vcc
	v_div_scale_f32 v0, s[4:5], v2, v2, 1.0
	v_rcp_f32_e32 v6, v0
	s_load_dwordx2 s[4:5], s[0:1], 0x0
	v_fma_f32 v7, -v0, v6, 1.0
	v_fmac_f32_e32 v6, v7, v6
	v_div_scale_f32 v7, vcc, 1.0, v2, 1.0
	v_mul_f32_e32 v18, v7, v6
	v_fma_f32 v19, -v0, v18, v7
	v_fmac_f32_e32 v18, v19, v6
	v_fma_f32 v0, -v0, v18, v7
	v_div_fmas_f32 v0, v0, v6, v18
	v_div_fixup_f32 v18, v0, v2, 1.0
	v_add_u32_e32 v0, s2, v49
	v_mul_lo_u32 v6, v0, s22
	v_ashrrev_i32_e32 v7, 31, v6
	s_waitcnt lgkmcnt(0)
	v_lshl_add_u64 v[6:7], s[4:5], 0, v[6:7]
	s_mov_b32 s2, 0xc3700000
	v_lshl_add_u64 v[16:17], v[6:7], 0, v[16:17]
	v_mul_f32_e32 v7, v18, v9
	v_med3_f32 v7, v7, s2, v21
	v_mul_f32_e32 v6, v18, v8
	v_cvt_pk_fp8_f32 v8, v7, 0
	v_mul_f32_e32 v7, v18, v12
	v_med3_f32 v7, v7, s2, v21
	v_cvt_pk_fp8_f32 v9, v7, 0
	v_mul_f32_e32 v7, v18, v10
	v_mul_f32_e32 v10, v18, v13
	v_med3_f32 v10, v10, s2, v21
	v_mul_f32_e32 v12, v18, v14
	v_med3_f32 v7, v7, s2, v21
	v_cvt_pk_fp8_f32 v10, v10, 0
	v_mul_f32_e32 v11, v18, v11
	v_med3_f32 v12, v12, s2, v21
	v_cvt_pk_fp8_f32 v7, v7, 0
	v_med3_f32 v11, v11, s2, v21
	v_cvt_pk_fp8_f32 v12, v12, 0
	v_cvt_pk_fp8_f32 v11, v11, 0
	v_mul_f32_e32 v19, v18, v51
	v_med3_f32 v6, v6, s2, v21
	v_med3_f32 v19, v19, s2, v21
	v_cvt_pk_fp8_f32 v6, v6, 0
	v_lshlrev_b16_e32 v10, 8, v10
	v_cvt_pk_fp8_f32 v19, v19, 0
	v_or_b32_sdwa v7, v7, v10 dst_sel:DWORD dst_unused:UNUSED_PAD src0_sel:BYTE_0 src1_sel:DWORD
	v_lshlrev_b16_e32 v10, 8, v12
	v_or_b32_sdwa v10, v11, v10 dst_sel:WORD_1 dst_unused:UNUSED_PAD src0_sel:BYTE_0 src1_sel:DWORD
	v_lshlrev_b16_e32 v9, 8, v9
	v_or_b32_sdwa v7, v7, v10 dst_sel:DWORD dst_unused:UNUSED_PAD src0_sel:WORD_0 src1_sel:DWORD
	v_mul_f32_e32 v10, v18, v22
	v_mul_f32_e32 v3, v18, v3
	v_lshlrev_b16_e32 v6, 8, v6
	v_or_b32_sdwa v8, v8, v9 dst_sel:WORD_1 dst_unused:UNUSED_PAD src0_sel:BYTE_0 src1_sel:DWORD
	v_mul_f32_e32 v9, v18, v28
	v_med3_f32 v10, v10, s2, v21
	v_mul_f32_e32 v11, v18, v20
	v_med3_f32 v3, v3, s2, v21
	v_or_b32_sdwa v6, v19, v6 dst_sel:DWORD dst_unused:UNUSED_PAD src0_sel:BYTE_0 src1_sel:DWORD
	v_mul_f32_e32 v4, v18, v4
	v_mul_f32_e32 v5, v18, v5
	v_med3_f32 v9, v9, s2, v21
	v_cvt_pk_fp8_f32 v10, v10, 0
	v_med3_f32 v11, v11, s2, v21
	v_cvt_pk_fp8_f32 v3, v3, 0
	v_or_b32_sdwa v6, v6, v8 dst_sel:DWORD dst_unused:UNUSED_PAD src0_sel:WORD_0 src1_sel:DWORD
	v_mul_f32_e32 v8, v18, v15
	v_med3_f32 v4, v4, s2, v21
	v_mul_f32_e32 v1, v18, v1
	v_med3_f32 v5, v5, s2, v21
	v_cvt_pk_fp8_f32 v9, v9, 0
	v_cvt_pk_fp8_f32 v11, v11, 0
	v_med3_f32 v8, v8, s2, v21
	v_cvt_pk_fp8_f32 v4, v4, 0
	v_med3_f32 v1, v1, s2, v21
	v_cvt_pk_fp8_f32 v5, v5, 0
	v_cvt_pk_fp8_f32 v8, v8, 0
	;; [unrolled: 1-line block ×3, first 2 shown]
	v_lshlrev_b16_e32 v10, 8, v10
	v_lshlrev_b16_e32 v3, 8, v3
	v_or_b32_sdwa v9, v9, v10 dst_sel:DWORD dst_unused:UNUSED_PAD src0_sel:BYTE_0 src1_sel:DWORD
	v_or_b32_sdwa v3, v11, v3 dst_sel:WORD_1 dst_unused:UNUSED_PAD src0_sel:BYTE_0 src1_sel:DWORD
	v_cmp_eq_u32_e32 vcc, 0, v48
	v_or_b32_sdwa v9, v9, v3 dst_sel:DWORD dst_unused:UNUSED_PAD src0_sel:WORD_0 src1_sel:DWORD
	v_lshlrev_b16_e32 v3, 8, v4
	v_lshlrev_b16_e32 v4, 8, v5
	v_or_b32_sdwa v3, v8, v3 dst_sel:DWORD dst_unused:UNUSED_PAD src0_sel:BYTE_0 src1_sel:DWORD
	v_or_b32_sdwa v1, v1, v4 dst_sel:WORD_1 dst_unused:UNUSED_PAD src0_sel:BYTE_0 src1_sel:DWORD
	s_nop 0
	v_or_b32_sdwa v8, v3, v1 dst_sel:DWORD dst_unused:UNUSED_PAD src0_sel:WORD_0 src1_sel:DWORD
	global_store_dwordx4 v[16:17], v[6:9], off
	s_and_b64 exec, exec, vcc
	s_cbranch_execz .LBB2_3
; %bb.2:
	s_load_dwordx2 s[0:1], s[0:1], 0x8
	v_ashrrev_i32_e32 v1, 31, v0
	s_waitcnt lgkmcnt(0)
	v_lshl_add_u64 v[0:1], v[0:1], 2, s[0:1]
	global_store_dword v[0:1], v2, off
.LBB2_3:
	s_endpgm
	.section	.rodata,"a",@progbits
	.p2align	6, 0x0
	.amdhsa_kernel _ZN5aiter36gated_rmsnorm_fp8_group_quant_kernelItDB8_Li128ELi16ELi256ELb0EEEvPT0_PfPKT_S7_S7_diiillll
		.amdhsa_group_segment_fixed_size 0
		.amdhsa_private_segment_fixed_size 0
		.amdhsa_kernarg_size 96
		.amdhsa_user_sgpr_count 2
		.amdhsa_user_sgpr_dispatch_ptr 0
		.amdhsa_user_sgpr_queue_ptr 0
		.amdhsa_user_sgpr_kernarg_segment_ptr 1
		.amdhsa_user_sgpr_dispatch_id 0
		.amdhsa_user_sgpr_kernarg_preload_length 0
		.amdhsa_user_sgpr_kernarg_preload_offset 0
		.amdhsa_user_sgpr_private_segment_size 0
		.amdhsa_uses_dynamic_stack 0
		.amdhsa_enable_private_segment 0
		.amdhsa_system_sgpr_workgroup_id_x 1
		.amdhsa_system_sgpr_workgroup_id_y 1
		.amdhsa_system_sgpr_workgroup_id_z 0
		.amdhsa_system_sgpr_workgroup_info 0
		.amdhsa_system_vgpr_workitem_id 0
		.amdhsa_next_free_vgpr 58
		.amdhsa_next_free_sgpr 24
		.amdhsa_accum_offset 60
		.amdhsa_reserve_vcc 1
		.amdhsa_float_round_mode_32 0
		.amdhsa_float_round_mode_16_64 0
		.amdhsa_float_denorm_mode_32 3
		.amdhsa_float_denorm_mode_16_64 3
		.amdhsa_dx10_clamp 1
		.amdhsa_ieee_mode 1
		.amdhsa_fp16_overflow 0
		.amdhsa_tg_split 0
		.amdhsa_exception_fp_ieee_invalid_op 0
		.amdhsa_exception_fp_denorm_src 0
		.amdhsa_exception_fp_ieee_div_zero 0
		.amdhsa_exception_fp_ieee_overflow 0
		.amdhsa_exception_fp_ieee_underflow 0
		.amdhsa_exception_fp_ieee_inexact 0
		.amdhsa_exception_int_div_zero 0
	.end_amdhsa_kernel
	.section	.text._ZN5aiter36gated_rmsnorm_fp8_group_quant_kernelItDB8_Li128ELi16ELi256ELb0EEEvPT0_PfPKT_S7_S7_diiillll,"axG",@progbits,_ZN5aiter36gated_rmsnorm_fp8_group_quant_kernelItDB8_Li128ELi16ELi256ELb0EEEvPT0_PfPKT_S7_S7_diiillll,comdat
.Lfunc_end2:
	.size	_ZN5aiter36gated_rmsnorm_fp8_group_quant_kernelItDB8_Li128ELi16ELi256ELb0EEEvPT0_PfPKT_S7_S7_diiillll, .Lfunc_end2-_ZN5aiter36gated_rmsnorm_fp8_group_quant_kernelItDB8_Li128ELi16ELi256ELb0EEEvPT0_PfPKT_S7_S7_diiillll
                                        ; -- End function
	.section	.AMDGPU.csdata,"",@progbits
; Kernel info:
; codeLenInByte = 4440
; NumSgprs: 30
; NumVgprs: 58
; NumAgprs: 0
; TotalNumVgprs: 58
; ScratchSize: 0
; MemoryBound: 0
; FloatMode: 240
; IeeeMode: 1
; LDSByteSize: 0 bytes/workgroup (compile time only)
; SGPRBlocks: 3
; VGPRBlocks: 7
; NumSGPRsForWavesPerEU: 30
; NumVGPRsForWavesPerEU: 58
; AccumOffset: 60
; Occupancy: 8
; WaveLimiterHint : 0
; COMPUTE_PGM_RSRC2:SCRATCH_EN: 0
; COMPUTE_PGM_RSRC2:USER_SGPR: 2
; COMPUTE_PGM_RSRC2:TRAP_HANDLER: 0
; COMPUTE_PGM_RSRC2:TGID_X_EN: 1
; COMPUTE_PGM_RSRC2:TGID_Y_EN: 1
; COMPUTE_PGM_RSRC2:TGID_Z_EN: 0
; COMPUTE_PGM_RSRC2:TIDIG_COMP_CNT: 0
; COMPUTE_PGM_RSRC3_GFX90A:ACCUM_OFFSET: 14
; COMPUTE_PGM_RSRC3_GFX90A:TG_SPLIT: 0
	.section	.text._ZN5aiter36gated_rmsnorm_fp8_group_quant_kernelIDF16_DB8_Li128ELi16ELi256ELb1EEEvPT0_PfPKT_S7_S7_diiillll,"axG",@progbits,_ZN5aiter36gated_rmsnorm_fp8_group_quant_kernelIDF16_DB8_Li128ELi16ELi256ELb1EEEvPT0_PfPKT_S7_S7_diiillll,comdat
	.protected	_ZN5aiter36gated_rmsnorm_fp8_group_quant_kernelIDF16_DB8_Li128ELi16ELi256ELb1EEEvPT0_PfPKT_S7_S7_diiillll ; -- Begin function _ZN5aiter36gated_rmsnorm_fp8_group_quant_kernelIDF16_DB8_Li128ELi16ELi256ELb1EEEvPT0_PfPKT_S7_S7_diiillll
	.globl	_ZN5aiter36gated_rmsnorm_fp8_group_quant_kernelIDF16_DB8_Li128ELi16ELi256ELb1EEEvPT0_PfPKT_S7_S7_diiillll
	.p2align	8
	.type	_ZN5aiter36gated_rmsnorm_fp8_group_quant_kernelIDF16_DB8_Li128ELi16ELi256ELb1EEEvPT0_PfPKT_S7_S7_diiillll,@function
_ZN5aiter36gated_rmsnorm_fp8_group_quant_kernelIDF16_DB8_Li128ELi16ELi256ELb1EEEvPT0_PfPKT_S7_S7_diiillll: ; @_ZN5aiter36gated_rmsnorm_fp8_group_quant_kernelIDF16_DB8_Li128ELi16ELi256ELb1EEEvPT0_PfPKT_S7_S7_diiillll
; %bb.0:
	s_load_dwordx4 s[20:23], s[0:1], 0x30
	v_lshrrev_b32_e32 v1, 3, v0
	v_and_b32_e32 v2, 0x78, v1
	v_lshl_add_u32 v2, s3, 5, v2
	v_and_or_b32 v18, v1, 7, v2
	s_waitcnt lgkmcnt(0)
	s_cmp_lt_i32 s2, s20
	s_cselect_b64 s[4:5], -1, 0
	v_cmp_gt_i32_e32 vcc, s21, v18
	s_and_b64 s[4:5], s[4:5], vcc
	s_and_saveexec_b64 s[6:7], s[4:5]
	s_cbranch_execz .LBB3_3
; %bb.1:
	s_load_dwordx8 s[12:19], s[0:1], 0x40
	s_load_dwordx8 s[4:11], s[0:1], 0x10
	v_ashrrev_i32_e32 v2, 31, v18
	v_and_b32_e32 v19, 7, v0
	s_ashr_i32 s3, s2, 31
	s_waitcnt lgkmcnt(0)
	s_mul_i32 s13, s2, s13
	s_mul_hi_u32 s23, s2, s12
	v_mul_lo_u32 v3, v18, s15
	v_mul_lo_u32 v4, v2, s14
	v_mad_u64_u32 v[0:1], s[14:15], v18, s14, 0
	s_add_i32 s13, s23, s13
	s_mul_i32 s23, s3, s12
	s_mul_i32 s14, s2, s17
	s_mul_hi_u32 s15, s2, s16
	s_add_i32 s13, s13, s23
	s_mul_i32 s12, s2, s12
	s_add_i32 s14, s15, s14
	s_mul_i32 s3, s3, s16
	s_add_i32 s15, s14, s3
	s_lshl_b64 s[12:13], s[12:13], 1
	s_add_u32 s4, s4, s12
	v_add3_u32 v1, v1, v3, v4
	s_addc_u32 s5, s5, s13
	v_mov_b32_e32 v17, 0
	v_lshlrev_b32_e32 v24, 5, v19
	v_lshl_add_u64 v[0:1], v[0:1], 1, s[4:5]
	v_mov_b32_e32 v25, v17
	v_lshl_add_u64 v[0:1], v[0:1], 0, v[24:25]
	global_load_dwordx4 v[8:11], v24, s[8:9]
	global_load_dwordx4 v[12:15], v[0:1], off
	global_load_dwordx4 v[20:23], v[0:1], off offset:16
	s_mul_i32 s14, s2, s16
	v_mad_u64_u32 v[0:1], s[4:5], v18, s18, 0
	s_lshl_b64 s[4:5], s[14:15], 1
	v_mul_lo_u32 v3, v18, s19
	v_mul_lo_u32 v2, v2, s18
	s_add_u32 s4, s6, s4
	v_add3_u32 v1, v1, v3, v2
	s_addc_u32 s5, s7, s5
	v_lshl_add_u64 v[0:1], v[0:1], 1, s[4:5]
	v_lshl_add_u64 v[30:31], v[0:1], 0, v[24:25]
	global_load_dwordx4 v[4:7], v[30:31], off
	global_load_dwordx4 v[0:3], v[30:31], off offset:16
	global_load_dwordx4 v[26:29], v24, s[8:9] offset:16
	v_mbcnt_lo_u32_b32 v16, -1, 0
	v_mbcnt_hi_u32_b32 v24, -1, v16
	v_and_b32_e32 v16, 64, v24
	v_xor_b32_e32 v25, 4, v24
	v_add_u32_e32 v32, 64, v16
	v_cmp_lt_i32_e32 vcc, v25, v32
	v_xor_b32_e32 v31, 2, v24
	s_mov_b32 s3, 0x800000
	v_cndmask_b32_e32 v16, v24, v25, vcc
	v_lshlrev_b32_e32 v16, 2, v16
	v_cmp_lt_i32_e32 vcc, v31, v32
	s_mov_b32 s4, 0xb2a5705f
	s_mov_b32 s5, 0x42ce8ed0
	;; [unrolled: 1-line block ×3, first 2 shown]
	s_waitcnt vmcnt(5)
	v_cvt_f32_f16_e32 v40, v10
	v_cvt_f32_f16_sdwa v41, v10 dst_sel:DWORD dst_unused:UNUSED_PAD src0_sel:WORD_1
	s_waitcnt vmcnt(4)
	v_cvt_f32_f16_e32 v10, v12
	v_cvt_f32_f16_sdwa v12, v12 dst_sel:DWORD dst_unused:UNUSED_PAD src0_sel:WORD_1
	v_cvt_f32_f16_e32 v43, v13
	v_cvt_f32_f16_sdwa v13, v13 dst_sel:DWORD dst_unused:UNUSED_PAD src0_sel:WORD_1
	;; [unrolled: 2-line block ×3, first 2 shown]
	v_cvt_f32_f16_e32 v44, v14
	v_mul_f32_e32 v8, v10, v10
	v_cvt_f32_f16_e32 v37, v9
	v_cvt_f32_f16_sdwa v39, v9 dst_sel:DWORD dst_unused:UNUSED_PAD src0_sel:WORD_1
	v_cvt_f32_f16_sdwa v14, v14 dst_sel:DWORD dst_unused:UNUSED_PAD src0_sel:WORD_1
	v_mul_f32_e32 v9, v12, v12
	v_add_f32_e32 v8, 0, v8
	v_cvt_f32_f16_e32 v45, v15
	s_waitcnt vmcnt(3)
	v_cvt_f32_f16_e32 v47, v21
	v_cvt_f32_f16_sdwa v48, v21 dst_sel:DWORD dst_unused:UNUSED_PAD src0_sel:WORD_1
	v_mul_f32_e32 v21, v43, v43
	v_add_f32_e32 v8, v8, v9
	v_cvt_f32_f16_sdwa v15, v15 dst_sel:DWORD dst_unused:UNUSED_PAD src0_sel:WORD_1
	v_cvt_f32_f16_e32 v50, v23
	v_cvt_f32_f16_sdwa v51, v23 dst_sel:DWORD dst_unused:UNUSED_PAD src0_sel:WORD_1
	v_mul_f32_e32 v23, v13, v13
	v_add_f32_e32 v8, v8, v21
	v_cvt_f32_f16_e32 v46, v20
	v_mul_f32_e32 v30, v44, v44
	v_add_f32_e32 v8, v8, v23
	v_cvt_f32_f16_sdwa v20, v20 dst_sel:DWORD dst_unused:UNUSED_PAD src0_sel:WORD_1
	v_mul_f32_e32 v33, v14, v14
	v_add_f32_e32 v8, v8, v30
	v_mul_f32_e32 v35, v45, v45
	v_add_f32_e32 v8, v8, v33
	;; [unrolled: 2-line block ×3, first 2 shown]
	v_cvt_f32_f16_e32 v49, v22
	v_mul_f32_e32 v55, v46, v46
	v_add_f32_e32 v8, v8, v38
	v_cvt_f32_f16_sdwa v22, v22 dst_sel:DWORD dst_unused:UNUSED_PAD src0_sel:WORD_1
	v_mul_f32_e32 v9, v20, v20
	v_add_f32_e32 v8, v8, v55
	v_mul_f32_e32 v21, v47, v47
	v_add_f32_e32 v8, v8, v9
	;; [unrolled: 2-line block ×7, first 2 shown]
	v_add_f32_e32 v8, v8, v38
	ds_bpermute_b32 v9, v16, v8
	v_cvt_f32_f16_e32 v42, v11
	v_cvt_f32_f16_sdwa v23, v11 dst_sel:DWORD dst_unused:UNUSED_PAD src0_sel:WORD_1
	v_mul_f32_e32 v13, v13, v39
	s_waitcnt vmcnt(0)
	v_cvt_f32_f16_e32 v55, v26
	s_waitcnt lgkmcnt(0)
	v_add_f32_e32 v9, v8, v9
	v_cndmask_b32_e32 v8, v24, v31, vcc
	v_lshlrev_b32_e32 v8, 2, v8
	ds_bpermute_b32 v21, v8, v9
	v_cvt_f32_f16_sdwa v26, v26 dst_sel:DWORD dst_unused:UNUSED_PAD src0_sel:WORD_1
	v_cvt_f32_f16_e32 v56, v27
	v_cvt_f32_f16_sdwa v57, v27 dst_sel:DWORD dst_unused:UNUSED_PAD src0_sel:WORD_1
	v_cvt_f32_f16_e32 v58, v28
	s_waitcnt lgkmcnt(0)
	v_add_f32_e32 v11, v9, v21
	v_xor_b32_e32 v9, 1, v24
	v_cmp_lt_i32_e32 vcc, v9, v32
	v_cvt_f32_f16_sdwa v59, v28 dst_sel:DWORD dst_unused:UNUSED_PAD src0_sel:WORD_1
	v_mul_f32_e32 v28, v10, v34
	v_cndmask_b32_e32 v9, v24, v9, vcc
	v_lshlrev_b32_e32 v9, 2, v9
	ds_bpermute_b32 v21, v9, v11
	v_mul_f32_e32 v34, v43, v37
	v_mul_f32_e32 v32, v12, v36
	v_cvt_f32_f16_e32 v52, v4
	v_cvt_f32_f16_sdwa v53, v4 dst_sel:DWORD dst_unused:UNUSED_PAD src0_sel:WORD_1
	s_waitcnt lgkmcnt(0)
	v_add_f32_e32 v11, v11, v21
	v_cvt_f32_f64_e32 v21, s[10:11]
	v_fmamk_f32 v11, v11, 0x3c000000, v21
	v_mul_f32_e32 v21, 0x4b800000, v11
	v_cmp_gt_f32_e32 vcc, s3, v11
	s_mov_b32 s3, 0xbfb8aa3b
	v_cvt_f32_f16_e32 v54, v5
	v_cndmask_b32_e32 v11, v11, v21, vcc
	v_rsq_f32_e32 v11, v11
	v_cvt_f32_f16_sdwa v25, v5 dst_sel:DWORD dst_unused:UNUSED_PAD src0_sel:WORD_1
	v_cvt_f32_f16_e32 v38, v6
	v_cvt_f32_f16_sdwa v30, v6 dst_sel:DWORD dst_unused:UNUSED_PAD src0_sel:WORD_1
	v_mul_f32_e32 v21, 0x45800000, v11
	v_cndmask_b32_e32 v62, v11, v21, vcc
	v_mul_f32_e32 v65, v62, v13
	v_mul_f32_e32 v13, v44, v40
	;; [unrolled: 1-line block ×23, first 2 shown]
	v_fma_mix_f32 v14, v4, s3, -v13 op_sel_hi:[1,0,0]
	v_rndne_f32_e32 v15, v13
	v_fma_mix_f32 v14, v4, s4, v14 op_sel_hi:[1,0,0]
	v_sub_f32_e32 v13, v13, v15
	v_add_f32_e32 v13, v13, v14
	v_exp_f32_e32 v13, v13
	v_cvt_i32_f32_e32 v14, v15
	v_cmp_nlt_f32_e32 vcc, s5, v52
	v_mov_b32_e32 v20, 0x7f800000
	v_cvt_f32_f16_e32 v35, v7
	v_ldexp_f32 v13, v13, v14
	v_cndmask_b32_e32 v13, 0, v13, vcc
	v_cmp_ngt_f32_e32 vcc, s6, v52
	v_cvt_f32_f16_sdwa v33, v7 dst_sel:DWORD dst_unused:UNUSED_PAD src0_sel:WORD_1
	v_cvt_f32_f16_e32 v31, v0
	v_cndmask_b32_e32 v13, v20, v13, vcc
	v_add_f32_e32 v14, 1.0, v13
	v_div_scale_f32 v41, s[8:9], v14, v14, 1.0
	v_rcp_f32_e32 v42, v41
	v_cvt_f32_f16_e32 v60, v29
	v_cvt_f32_f16_sdwa v61, v29 dst_sel:DWORD dst_unused:UNUSED_PAD src0_sel:WORD_1
	v_cvt_f32_f16_sdwa v29, v0 dst_sel:DWORD dst_unused:UNUSED_PAD src0_sel:WORD_1
	v_fma_f32 v44, -v41, v42, 1.0
	v_fmac_f32_e32 v42, v44, v42
	v_div_scale_f32 v44, vcc, 1.0, v14, 1.0
	v_mul_f32_e32 v45, v44, v42
	v_fma_f32 v46, -v41, v45, v44
	v_fmac_f32_e32 v45, v46, v42
	v_mul_f32_e32 v46, 0xbfb8aa3b, v53
	v_fma_mix_f32 v47, v4, s3, -v46 op_sel:[1,0,0] op_sel_hi:[1,0,0]
	v_fma_f32 v41, -v41, v45, v44
	v_fma_mix_f32 v4, v4, s4, v47 op_sel:[1,0,0] op_sel_hi:[1,0,0]
	v_rndne_f32_e32 v47, v46
	v_sub_f32_e32 v46, v46, v47
	v_add_f32_e32 v4, v46, v4
	v_exp_f32_e32 v4, v4
	v_cvt_i32_f32_e32 v46, v47
	v_div_fmas_f32 v41, v41, v42, v45
	v_cmp_nlt_f32_e32 vcc, s5, v53
	v_cvt_f32_f16_e32 v27, v1
	v_ldexp_f32 v4, v4, v46
	v_cndmask_b32_e32 v4, 0, v4, vcc
	v_cmp_ngt_f32_e32 vcc, s6, v53
	v_cvt_f32_f16_sdwa v24, v1 dst_sel:DWORD dst_unused:UNUSED_PAD src0_sel:WORD_1
	v_cvt_f32_f16_e32 v21, v2
	v_cndmask_b32_e32 v4, v20, v4, vcc
	v_add_f32_e32 v42, 1.0, v4
	v_div_scale_f32 v44, s[8:9], v42, v42, 1.0
	v_rcp_f32_e32 v45, v44
	v_div_fixup_f32 v4, v41, v14, 1.0
	v_mul_f32_e32 v4, v4, v52
	v_mul_f32_e32 v4, v43, v4
	v_fma_f32 v14, -v44, v45, 1.0
	v_fmac_f32_e32 v45, v14, v45
	v_div_scale_f32 v14, vcc, 1.0, v42, 1.0
	v_mul_f32_e32 v41, v14, v45
	v_fma_f32 v43, -v44, v41, v14
	v_fmac_f32_e32 v41, v43, v45
	v_mul_f32_e32 v43, 0xbfb8aa3b, v54
	v_fma_mix_f32 v46, v5, s3, -v43 op_sel_hi:[1,0,0]
	v_rndne_f32_e32 v47, v43
	v_fma_mix_f32 v46, v5, s4, v46 op_sel_hi:[1,0,0]
	v_sub_f32_e32 v43, v43, v47
	v_add_f32_e32 v43, v43, v46
	v_exp_f32_e32 v43, v43
	v_cvt_i32_f32_e32 v46, v47
	v_fma_f32 v14, -v44, v41, v14
	v_div_fmas_f32 v14, v14, v45, v41
	v_cmp_nlt_f32_e32 vcc, s5, v54
	v_ldexp_f32 v41, v43, v46
	v_div_fixup_f32 v14, v14, v42, 1.0
	v_cndmask_b32_e32 v41, 0, v41, vcc
	v_cmp_ngt_f32_e32 vcc, s6, v54
	v_cvt_f32_f16_sdwa v12, v2 dst_sel:DWORD dst_unused:UNUSED_PAD src0_sel:WORD_1
	v_cvt_f32_f16_e32 v11, v3
	v_cndmask_b32_e32 v41, v20, v41, vcc
	v_add_f32_e32 v41, 1.0, v41
	v_div_scale_f32 v43, s[8:9], v41, v41, 1.0
	v_rcp_f32_e32 v44, v43
	v_mul_f32_e32 v15, v22, v59
	v_mul_f32_e32 v22, v62, v15
	v_cvt_f32_f16_sdwa v10, v3 dst_sel:DWORD dst_unused:UNUSED_PAD src0_sel:WORD_1
	v_fma_f32 v42, -v43, v44, 1.0
	v_fmac_f32_e32 v44, v42, v44
	v_div_scale_f32 v42, vcc, 1.0, v41, 1.0
	v_mul_f32_e32 v45, v42, v44
	v_fma_f32 v46, -v43, v45, v42
	v_fmac_f32_e32 v45, v46, v44
	v_mul_f32_e32 v46, 0xbfb8aa3b, v25
	v_fma_mix_f32 v47, v5, s3, -v46 op_sel:[1,0,0] op_sel_hi:[1,0,0]
	v_fma_f32 v42, -v43, v45, v42
	v_fma_mix_f32 v5, v5, s4, v47 op_sel:[1,0,0] op_sel_hi:[1,0,0]
	v_rndne_f32_e32 v47, v46
	v_sub_f32_e32 v46, v46, v47
	v_add_f32_e32 v5, v46, v5
	v_exp_f32_e32 v5, v5
	v_cvt_i32_f32_e32 v46, v47
	v_div_fmas_f32 v42, v42, v44, v45
	v_cmp_nlt_f32_e32 vcc, s5, v25
	v_mul_f32_e32 v15, v50, v60
	v_ldexp_f32 v5, v5, v46
	v_cndmask_b32_e32 v5, 0, v5, vcc
	v_cmp_ngt_f32_e32 vcc, s6, v25
	v_mul_f32_e32 v15, v62, v15
	v_mul_f32_e32 v13, v51, v61
	v_cndmask_b32_e32 v5, v20, v5, vcc
	v_add_f32_e32 v43, 1.0, v5
	v_div_scale_f32 v44, s[8:9], v43, v43, 1.0
	v_rcp_f32_e32 v45, v44
	v_div_fixup_f32 v5, v42, v41, 1.0
	v_mul_f32_e32 v14, v14, v53
	v_mul_f32_e32 v13, v62, v13
	v_fma_f32 v41, -v44, v45, 1.0
	v_fmac_f32_e32 v45, v41, v45
	v_div_scale_f32 v41, vcc, 1.0, v43, 1.0
	v_mul_f32_e32 v42, v41, v45
	v_fma_f32 v46, -v44, v42, v41
	v_fmac_f32_e32 v42, v46, v45
	v_mul_f32_e32 v46, 0xbfb8aa3b, v38
	v_fma_mix_f32 v47, v6, s3, -v46 op_sel_hi:[1,0,0]
	v_rndne_f32_e32 v48, v46
	v_fma_mix_f32 v47, v6, s4, v47 op_sel_hi:[1,0,0]
	v_sub_f32_e32 v46, v46, v48
	v_add_f32_e32 v46, v46, v47
	v_exp_f32_e32 v46, v46
	v_cvt_i32_f32_e32 v47, v48
	v_fma_f32 v41, -v44, v42, v41
	v_div_fmas_f32 v41, v41, v45, v42
	v_cmp_nlt_f32_e32 vcc, s5, v38
	v_ldexp_f32 v42, v46, v47
	v_div_fixup_f32 v41, v41, v43, 1.0
	v_cndmask_b32_e32 v42, 0, v42, vcc
	v_cmp_ngt_f32_e32 vcc, s6, v38
	v_mul_f32_e32 v25, v41, v25
	v_mul_f32_e32 v14, v63, v14
	v_cndmask_b32_e32 v42, v20, v42, vcc
	v_add_f32_e32 v42, 1.0, v42
	v_div_scale_f32 v44, s[8:9], v42, v42, 1.0
	v_rcp_f32_e32 v45, v44
	v_mul_f32_e32 v5, v5, v54
	v_mul_f32_e32 v5, v64, v5
	;; [unrolled: 1-line block ×3, first 2 shown]
	v_fma_f32 v41, -v44, v45, 1.0
	v_fmac_f32_e32 v45, v41, v45
	v_div_scale_f32 v41, vcc, 1.0, v42, 1.0
	v_mul_f32_e32 v43, v41, v45
	v_fma_f32 v46, -v44, v43, v41
	v_fmac_f32_e32 v43, v46, v45
	v_mul_f32_e32 v46, 0xbfb8aa3b, v30
	v_fma_mix_f32 v47, v6, s3, -v46 op_sel:[1,0,0] op_sel_hi:[1,0,0]
	v_fma_f32 v41, -v44, v43, v41
	v_fma_mix_f32 v6, v6, s4, v47 op_sel:[1,0,0] op_sel_hi:[1,0,0]
	v_rndne_f32_e32 v47, v46
	v_sub_f32_e32 v46, v46, v47
	v_add_f32_e32 v6, v46, v6
	v_exp_f32_e32 v6, v6
	v_cvt_i32_f32_e32 v46, v47
	v_div_fmas_f32 v41, v41, v45, v43
	v_cmp_nlt_f32_e32 vcc, s5, v30
	v_ldexp_f32 v6, v6, v46
	s_nop 0
	v_cndmask_b32_e32 v6, 0, v6, vcc
	v_cmp_ngt_f32_e32 vcc, s6, v30
	s_nop 1
	v_cndmask_b32_e32 v6, v20, v6, vcc
	v_add_f32_e32 v43, 1.0, v6
	v_div_scale_f32 v44, s[8:9], v43, v43, 1.0
	v_rcp_f32_e32 v45, v44
	v_div_fixup_f32 v6, v41, v42, 1.0
	v_mul_f32_e32 v6, v6, v38
	v_mul_f32_e32 v6, v40, v6
	v_fma_f32 v38, -v44, v45, 1.0
	v_fmac_f32_e32 v45, v38, v45
	v_div_scale_f32 v38, vcc, 1.0, v43, 1.0
	v_mul_f32_e32 v40, v38, v45
	v_fma_f32 v41, -v44, v40, v38
	v_fmac_f32_e32 v40, v41, v45
	v_mul_f32_e32 v41, 0xbfb8aa3b, v35
	v_fma_mix_f32 v42, v7, s3, -v41 op_sel_hi:[1,0,0]
	v_rndne_f32_e32 v46, v41
	v_fma_mix_f32 v42, v7, s4, v42 op_sel_hi:[1,0,0]
	v_sub_f32_e32 v41, v41, v46
	v_add_f32_e32 v41, v41, v42
	v_exp_f32_e32 v41, v41
	v_cvt_i32_f32_e32 v42, v46
	v_fma_f32 v38, -v44, v40, v38
	v_div_fmas_f32 v38, v38, v45, v40
	v_cmp_nlt_f32_e32 vcc, s5, v35
	v_ldexp_f32 v40, v41, v42
	v_div_fixup_f32 v38, v38, v43, 1.0
	v_cndmask_b32_e32 v40, 0, v40, vcc
	v_cmp_ngt_f32_e32 vcc, s6, v35
	v_mul_f32_e32 v30, v38, v30
	v_mul_f32_e32 v30, v39, v30
	v_cndmask_b32_e32 v40, v20, v40, vcc
	v_add_f32_e32 v40, 1.0, v40
	v_div_scale_f32 v41, s[8:9], v40, v40, 1.0
	v_rcp_f32_e32 v42, v41
	s_nop 0
	v_fma_f32 v38, -v41, v42, 1.0
	v_fmac_f32_e32 v42, v38, v42
	v_div_scale_f32 v38, vcc, 1.0, v40, 1.0
	v_mul_f32_e32 v39, v38, v42
	v_fma_f32 v43, -v41, v39, v38
	v_fmac_f32_e32 v39, v43, v42
	v_mul_f32_e32 v43, 0xbfb8aa3b, v33
	v_fma_mix_f32 v44, v7, s3, -v43 op_sel:[1,0,0] op_sel_hi:[1,0,0]
	v_fma_f32 v38, -v41, v39, v38
	v_fma_mix_f32 v7, v7, s4, v44 op_sel:[1,0,0] op_sel_hi:[1,0,0]
	v_rndne_f32_e32 v44, v43
	v_sub_f32_e32 v43, v43, v44
	v_add_f32_e32 v7, v43, v7
	v_exp_f32_e32 v7, v7
	v_cvt_i32_f32_e32 v43, v44
	v_div_fmas_f32 v38, v38, v42, v39
	v_cmp_nlt_f32_e32 vcc, s5, v33
	v_ldexp_f32 v7, v7, v43
	s_nop 0
	v_cndmask_b32_e32 v7, 0, v7, vcc
	v_cmp_ngt_f32_e32 vcc, s6, v33
	s_nop 1
	v_cndmask_b32_e32 v7, v20, v7, vcc
	v_add_f32_e32 v39, 1.0, v7
	v_div_scale_f32 v41, s[8:9], v39, v39, 1.0
	v_rcp_f32_e32 v42, v41
	v_div_fixup_f32 v7, v38, v40, 1.0
	v_mul_f32_e32 v7, v7, v35
	v_mul_f32_e32 v7, v37, v7
	v_fma_f32 v35, -v41, v42, 1.0
	v_fmac_f32_e32 v42, v35, v42
	v_div_scale_f32 v35, vcc, 1.0, v39, 1.0
	v_mul_f32_e32 v37, v35, v42
	v_fma_f32 v38, -v41, v37, v35
	v_fmac_f32_e32 v37, v38, v42
	v_mul_f32_e32 v38, 0xbfb8aa3b, v31
	v_fma_mix_f32 v40, v0, s3, -v38 op_sel_hi:[1,0,0]
	v_rndne_f32_e32 v43, v38
	v_fma_mix_f32 v40, v0, s4, v40 op_sel_hi:[1,0,0]
	v_sub_f32_e32 v38, v38, v43
	v_add_f32_e32 v38, v38, v40
	v_exp_f32_e32 v38, v38
	v_cvt_i32_f32_e32 v40, v43
	v_fma_f32 v35, -v41, v37, v35
	v_div_fmas_f32 v35, v35, v42, v37
	v_cmp_nlt_f32_e32 vcc, s5, v31
	v_ldexp_f32 v37, v38, v40
	v_div_fixup_f32 v35, v35, v39, 1.0
	v_cndmask_b32_e32 v37, 0, v37, vcc
	v_cmp_ngt_f32_e32 vcc, s6, v31
	v_mul_f32_e32 v33, v35, v33
	v_mul_f32_e32 v33, v36, v33
	v_cndmask_b32_e32 v37, v20, v37, vcc
	v_add_f32_e32 v37, 1.0, v37
	v_div_scale_f32 v38, s[8:9], v37, v37, 1.0
	v_rcp_f32_e32 v40, v38
	s_nop 0
	;; [unrolled: 57-line block ×4, first 2 shown]
	v_fma_f32 v26, -v31, v34, 1.0
	v_fmac_f32_e32 v34, v26, v34
	v_div_scale_f32 v26, vcc, 1.0, v28, 1.0
	v_mul_f32_e32 v27, v26, v34
	v_fma_f32 v32, -v31, v27, v26
	v_fmac_f32_e32 v27, v32, v34
	v_mul_f32_e32 v32, 0xbfb8aa3b, v12
	v_fma_mix_f32 v35, v2, s3, -v32 op_sel:[1,0,0] op_sel_hi:[1,0,0]
	v_fma_f32 v26, -v31, v27, v26
	v_fma_mix_f32 v2, v2, s4, v35 op_sel:[1,0,0] op_sel_hi:[1,0,0]
	v_rndne_f32_e32 v35, v32
	v_sub_f32_e32 v32, v32, v35
	v_add_f32_e32 v2, v32, v2
	v_exp_f32_e32 v2, v2
	v_cvt_i32_f32_e32 v32, v35
	v_div_fmas_f32 v26, v26, v34, v27
	v_cmp_nlt_f32_e32 vcc, s5, v12
	v_div_fixup_f32 v26, v26, v28, 1.0
	v_ldexp_f32 v2, v2, v32
	v_cndmask_b32_e32 v2, 0, v2, vcc
	v_cmp_ngt_f32_e32 vcc, s6, v12
	v_mul_f32_e32 v21, v26, v21
	v_mul_f32_e32 v21, v23, v21
	v_cndmask_b32_e32 v2, v20, v2, vcc
	v_add_f32_e32 v2, 1.0, v2
	v_div_scale_f32 v27, s[8:9], v2, v2, 1.0
	v_rcp_f32_e32 v31, v27
	s_nop 0
	v_fma_f32 v23, -v27, v31, 1.0
	v_fmac_f32_e32 v31, v23, v31
	v_div_scale_f32 v23, vcc, 1.0, v2, 1.0
	v_mul_f32_e32 v26, v23, v31
	v_fma_f32 v28, -v27, v26, v23
	v_fmac_f32_e32 v26, v28, v31
	v_mul_f32_e32 v28, 0xbfb8aa3b, v11
	v_fma_mix_f32 v32, v3, s3, -v28 op_sel_hi:[1,0,0]
	v_rndne_f32_e32 v34, v28
	v_fma_mix_f32 v32, v3, s4, v32 op_sel_hi:[1,0,0]
	v_sub_f32_e32 v28, v28, v34
	v_add_f32_e32 v28, v28, v32
	v_exp_f32_e32 v28, v28
	v_cvt_i32_f32_e32 v32, v34
	v_fma_f32 v23, -v27, v26, v23
	v_div_fmas_f32 v23, v23, v31, v26
	v_cmp_nlt_f32_e32 vcc, s5, v11
	v_ldexp_f32 v26, v28, v32
	v_div_fixup_f32 v2, v23, v2, 1.0
	v_cndmask_b32_e32 v26, 0, v26, vcc
	v_cmp_ngt_f32_e32 vcc, s6, v11
	v_mul_f32_e32 v2, v2, v12
	v_mul_f32_e32 v12, v22, v2
	v_cndmask_b32_e32 v26, v20, v26, vcc
	v_add_f32_e32 v26, 1.0, v26
	v_div_scale_f32 v27, s[8:9], v26, v26, 1.0
	v_rcp_f32_e32 v28, v27
	s_nop 0
	v_fma_f32 v2, -v27, v28, 1.0
	v_fmac_f32_e32 v28, v2, v28
	v_div_scale_f32 v2, vcc, 1.0, v26, 1.0
	v_mul_f32_e32 v22, v2, v28
	v_fma_f32 v23, -v27, v22, v2
	v_fmac_f32_e32 v22, v23, v28
	v_mul_f32_e32 v23, 0xbfb8aa3b, v10
	v_fma_mix_f32 v31, v3, s3, -v23 op_sel:[1,0,0] op_sel_hi:[1,0,0]
	v_fma_f32 v2, -v27, v22, v2
	v_fma_mix_f32 v3, v3, s4, v31 op_sel:[1,0,0] op_sel_hi:[1,0,0]
	v_rndne_f32_e32 v31, v23
	v_sub_f32_e32 v23, v23, v31
	v_add_f32_e32 v3, v23, v3
	v_exp_f32_e32 v3, v3
	v_cvt_i32_f32_e32 v23, v31
	v_div_fmas_f32 v2, v2, v28, v22
	v_cmp_nlt_f32_e32 vcc, s5, v10
	v_div_fixup_f32 v2, v2, v26, 1.0
	v_ldexp_f32 v3, v3, v23
	v_cndmask_b32_e32 v3, 0, v3, vcc
	v_cmp_ngt_f32_e32 vcc, s6, v10
	v_mul_f32_e32 v2, v2, v11
	v_mul_f32_e32 v11, v15, v2
	v_cndmask_b32_e32 v3, v20, v3, vcc
	v_add_f32_e32 v3, 1.0, v3
	v_div_scale_f32 v20, s[4:5], v3, v3, 1.0
	v_rcp_f32_e32 v22, v20
	s_mov_b32 s3, 0xff800000
	v_fma_f32 v2, -v20, v22, 1.0
	v_fmac_f32_e32 v22, v2, v22
	v_div_scale_f32 v2, vcc, 1.0, v3, 1.0
	v_mul_f32_e32 v15, v2, v22
	v_fma_f32 v23, -v20, v15, v2
	v_fmac_f32_e32 v15, v23, v22
	v_fma_f32 v2, -v20, v15, v2
	v_div_fmas_f32 v2, v2, v22, v15
	v_div_fixup_f32 v2, v2, v3, 1.0
	v_mul_f32_e32 v2, v2, v10
	v_mul_f32_e32 v3, v13, v2
	v_max3_f32 v2, |v4|, s3, |v14|
	v_max3_f32 v2, v2, |v5|, |v25|
	v_max3_f32 v2, v2, |v6|, |v30|
	;; [unrolled: 1-line block ×7, first 2 shown]
	ds_bpermute_b32 v10, v16, v2
	s_mov_b32 s3, 0x43700000
	v_lshlrev_b32_e32 v16, 4, v19
	s_waitcnt lgkmcnt(0)
	v_max_f32_e32 v10, v10, v10
	v_max_f32_e32 v2, v2, v10
	ds_bpermute_b32 v8, v8, v2
	s_waitcnt lgkmcnt(0)
	v_max_f32_e32 v8, v8, v8
	v_max_f32_e32 v2, v2, v8
	ds_bpermute_b32 v8, v9, v2
	s_waitcnt lgkmcnt(0)
	v_max_f32_e32 v8, v8, v8
	v_max_f32_e32 v2, v2, v8
	v_div_scale_f32 v8, s[4:5], s3, s3, v2
	v_rcp_f32_e32 v9, v8
	s_mov_b32 s4, 0x2edbe6ff
	v_fma_f32 v10, -v8, v9, 1.0
	v_fmac_f32_e32 v9, v10, v9
	v_div_scale_f32 v10, vcc, v2, s3, v2
	v_mul_f32_e32 v13, v10, v9
	v_fma_f32 v15, -v8, v13, v10
	v_fmac_f32_e32 v13, v15, v9
	v_fma_f32 v8, -v8, v13, v10
	v_div_fmas_f32 v8, v8, v9, v13
	v_div_fixup_f32 v8, v8, s3, v2
	v_mov_b32_e32 v9, 0x2edbe6ff
	v_cmp_lt_f32_e32 vcc, s4, v2
	s_mul_i32 s3, s2, s21
	s_nop 0
	v_cndmask_b32_e32 v2, v9, v8, vcc
	v_div_scale_f32 v8, s[4:5], v2, v2, 1.0
	v_rcp_f32_e32 v9, v8
	s_load_dwordx2 s[4:5], s[0:1], 0x0
	v_fma_f32 v10, -v8, v9, 1.0
	v_fmac_f32_e32 v9, v10, v9
	v_div_scale_f32 v10, vcc, 1.0, v2, 1.0
	v_mul_f32_e32 v13, v10, v9
	v_fma_f32 v15, -v8, v13, v10
	v_fmac_f32_e32 v13, v15, v9
	v_fma_f32 v8, -v8, v13, v10
	v_div_fmas_f32 v8, v8, v9, v13
	v_div_fixup_f32 v10, v8, v2, 1.0
	v_add_u32_e32 v8, s3, v18
	s_mov_b32 s3, 0xc3700000
	v_mov_b32_e32 v13, 0x43700000
	v_mul_f32_e32 v5, v10, v5
	v_mul_lo_u32 v8, v8, s22
	v_med3_f32 v5, v5, s3, v13
	v_ashrrev_i32_e32 v9, 31, v8
	v_cvt_pk_fp8_f32 v15, v5, 0
	v_mul_f32_e32 v5, v10, v25
	s_waitcnt lgkmcnt(0)
	v_lshl_add_u64 v[8:9], s[4:5], 0, v[8:9]
	v_med3_f32 v5, v5, s3, v13
	v_lshl_add_u64 v[8:9], v[8:9], 0, v[16:17]
	v_cvt_pk_fp8_f32 v16, v5, 0
	v_mul_f32_e32 v5, v10, v6
	v_mul_f32_e32 v6, v10, v30
	v_med3_f32 v6, v6, s3, v13
	v_mul_f32_e32 v17, v10, v33
	v_med3_f32 v5, v5, s3, v13
	v_cvt_pk_fp8_f32 v6, v6, 0
	v_mul_f32_e32 v7, v10, v7
	v_med3_f32 v17, v17, s3, v13
	v_mul_f32_e32 v14, v10, v14
	v_cvt_pk_fp8_f32 v5, v5, 0
	v_med3_f32 v7, v7, s3, v13
	v_cvt_pk_fp8_f32 v17, v17, 0
	v_mul_f32_e32 v4, v10, v4
	v_med3_f32 v14, v14, s3, v13
	v_cvt_pk_fp8_f32 v7, v7, 0
	v_med3_f32 v4, v4, s3, v13
	v_cvt_pk_fp8_f32 v14, v14, 0
	v_cvt_pk_fp8_f32 v4, v4, 0
	v_lshlrev_b16_e32 v6, 8, v6
	v_or_b32_sdwa v5, v5, v6 dst_sel:DWORD dst_unused:UNUSED_PAD src0_sel:BYTE_0 src1_sel:DWORD
	v_lshlrev_b16_e32 v6, 8, v17
	v_or_b32_sdwa v6, v7, v6 dst_sel:WORD_1 dst_unused:UNUSED_PAD src0_sel:BYTE_0 src1_sel:DWORD
	v_mul_f32_e32 v7, v10, v24
	v_or_b32_sdwa v5, v5, v6 dst_sel:DWORD dst_unused:UNUSED_PAD src0_sel:WORD_0 src1_sel:DWORD
	v_lshlrev_b16_e32 v6, 8, v14
	v_or_b32_sdwa v4, v4, v6 dst_sel:DWORD dst_unused:UNUSED_PAD src0_sel:BYTE_0 src1_sel:DWORD
	v_lshlrev_b16_e32 v6, 8, v16
	v_med3_f32 v7, v7, s3, v13
	v_mul_f32_e32 v12, v10, v12
	v_mul_f32_e32 v3, v10, v3
	v_or_b32_sdwa v6, v15, v6 dst_sel:WORD_1 dst_unused:UNUSED_PAD src0_sel:BYTE_0 src1_sel:DWORD
	v_cvt_pk_fp8_f32 v14, v7, 0
	v_mul_f32_e32 v7, v10, v21
	v_med3_f32 v12, v12, s3, v13
	v_mul_f32_e32 v11, v10, v11
	v_med3_f32 v3, v3, s3, v13
	v_or_b32_sdwa v4, v4, v6 dst_sel:DWORD dst_unused:UNUSED_PAD src0_sel:WORD_0 src1_sel:DWORD
	v_mul_f32_e32 v6, v10, v29
	v_med3_f32 v7, v7, s3, v13
	v_cvt_pk_fp8_f32 v12, v12, 0
	v_med3_f32 v11, v11, s3, v13
	v_cvt_pk_fp8_f32 v3, v3, 0
	v_mul_f32_e32 v0, v10, v0
	v_med3_f32 v6, v6, s3, v13
	v_mul_f32_e32 v1, v10, v1
	v_cvt_pk_fp8_f32 v7, v7, 0
	v_cvt_pk_fp8_f32 v10, v11, 0
	v_med3_f32 v0, v0, s3, v13
	v_cvt_pk_fp8_f32 v6, v6, 0
	v_cvt_pk_fp8_f32 v0, v0, 0
	v_med3_f32 v1, v1, s3, v13
	v_cvt_pk_fp8_f32 v1, v1, 0
	v_lshlrev_b16_e32 v11, 8, v12
	v_lshlrev_b16_e32 v3, 8, v3
	v_or_b32_sdwa v7, v7, v11 dst_sel:DWORD dst_unused:UNUSED_PAD src0_sel:BYTE_0 src1_sel:DWORD
	v_or_b32_sdwa v3, v10, v3 dst_sel:WORD_1 dst_unused:UNUSED_PAD src0_sel:BYTE_0 src1_sel:DWORD
	v_cmp_eq_u32_e32 vcc, 0, v19
	v_or_b32_sdwa v7, v7, v3 dst_sel:DWORD dst_unused:UNUSED_PAD src0_sel:WORD_0 src1_sel:DWORD
	v_lshlrev_b16_e32 v3, 8, v6
	v_or_b32_sdwa v0, v0, v3 dst_sel:DWORD dst_unused:UNUSED_PAD src0_sel:BYTE_0 src1_sel:DWORD
	v_lshlrev_b16_e32 v3, 8, v14
	v_or_b32_sdwa v1, v1, v3 dst_sel:WORD_1 dst_unused:UNUSED_PAD src0_sel:BYTE_0 src1_sel:DWORD
	s_nop 0
	v_or_b32_sdwa v6, v0, v1 dst_sel:DWORD dst_unused:UNUSED_PAD src0_sel:WORD_0 src1_sel:DWORD
	global_store_dwordx4 v[8:9], v[4:7], off
	s_and_b64 exec, exec, vcc
	s_cbranch_execz .LBB3_3
; %bb.2:
	s_load_dwordx2 s[0:1], s[0:1], 0x8
	v_mul_lo_u32 v0, v18, s20
	v_add_u32_e32 v0, s2, v0
	v_ashrrev_i32_e32 v1, 31, v0
	s_waitcnt lgkmcnt(0)
	v_lshl_add_u64 v[0:1], v[0:1], 2, s[0:1]
	global_store_dword v[0:1], v2, off
.LBB3_3:
	s_endpgm
	.section	.rodata,"a",@progbits
	.p2align	6, 0x0
	.amdhsa_kernel _ZN5aiter36gated_rmsnorm_fp8_group_quant_kernelIDF16_DB8_Li128ELi16ELi256ELb1EEEvPT0_PfPKT_S7_S7_diiillll
		.amdhsa_group_segment_fixed_size 0
		.amdhsa_private_segment_fixed_size 0
		.amdhsa_kernarg_size 96
		.amdhsa_user_sgpr_count 2
		.amdhsa_user_sgpr_dispatch_ptr 0
		.amdhsa_user_sgpr_queue_ptr 0
		.amdhsa_user_sgpr_kernarg_segment_ptr 1
		.amdhsa_user_sgpr_dispatch_id 0
		.amdhsa_user_sgpr_kernarg_preload_length 0
		.amdhsa_user_sgpr_kernarg_preload_offset 0
		.amdhsa_user_sgpr_private_segment_size 0
		.amdhsa_uses_dynamic_stack 0
		.amdhsa_enable_private_segment 0
		.amdhsa_system_sgpr_workgroup_id_x 1
		.amdhsa_system_sgpr_workgroup_id_y 1
		.amdhsa_system_sgpr_workgroup_id_z 0
		.amdhsa_system_sgpr_workgroup_info 0
		.amdhsa_system_vgpr_workitem_id 0
		.amdhsa_next_free_vgpr 66
		.amdhsa_next_free_sgpr 24
		.amdhsa_accum_offset 68
		.amdhsa_reserve_vcc 1
		.amdhsa_float_round_mode_32 0
		.amdhsa_float_round_mode_16_64 0
		.amdhsa_float_denorm_mode_32 3
		.amdhsa_float_denorm_mode_16_64 3
		.amdhsa_dx10_clamp 1
		.amdhsa_ieee_mode 1
		.amdhsa_fp16_overflow 0
		.amdhsa_tg_split 0
		.amdhsa_exception_fp_ieee_invalid_op 0
		.amdhsa_exception_fp_denorm_src 0
		.amdhsa_exception_fp_ieee_div_zero 0
		.amdhsa_exception_fp_ieee_overflow 0
		.amdhsa_exception_fp_ieee_underflow 0
		.amdhsa_exception_fp_ieee_inexact 0
		.amdhsa_exception_int_div_zero 0
	.end_amdhsa_kernel
	.section	.text._ZN5aiter36gated_rmsnorm_fp8_group_quant_kernelIDF16_DB8_Li128ELi16ELi256ELb1EEEvPT0_PfPKT_S7_S7_diiillll,"axG",@progbits,_ZN5aiter36gated_rmsnorm_fp8_group_quant_kernelIDF16_DB8_Li128ELi16ELi256ELb1EEEvPT0_PfPKT_S7_S7_diiillll,comdat
.Lfunc_end3:
	.size	_ZN5aiter36gated_rmsnorm_fp8_group_quant_kernelIDF16_DB8_Li128ELi16ELi256ELb1EEEvPT0_PfPKT_S7_S7_diiillll, .Lfunc_end3-_ZN5aiter36gated_rmsnorm_fp8_group_quant_kernelIDF16_DB8_Li128ELi16ELi256ELb1EEEvPT0_PfPKT_S7_S7_diiillll
                                        ; -- End function
	.section	.AMDGPU.csdata,"",@progbits
; Kernel info:
; codeLenInByte = 4484
; NumSgprs: 30
; NumVgprs: 66
; NumAgprs: 0
; TotalNumVgprs: 66
; ScratchSize: 0
; MemoryBound: 0
; FloatMode: 240
; IeeeMode: 1
; LDSByteSize: 0 bytes/workgroup (compile time only)
; SGPRBlocks: 3
; VGPRBlocks: 8
; NumSGPRsForWavesPerEU: 30
; NumVGPRsForWavesPerEU: 66
; AccumOffset: 68
; Occupancy: 7
; WaveLimiterHint : 0
; COMPUTE_PGM_RSRC2:SCRATCH_EN: 0
; COMPUTE_PGM_RSRC2:USER_SGPR: 2
; COMPUTE_PGM_RSRC2:TRAP_HANDLER: 0
; COMPUTE_PGM_RSRC2:TGID_X_EN: 1
; COMPUTE_PGM_RSRC2:TGID_Y_EN: 1
; COMPUTE_PGM_RSRC2:TGID_Z_EN: 0
; COMPUTE_PGM_RSRC2:TIDIG_COMP_CNT: 0
; COMPUTE_PGM_RSRC3_GFX90A:ACCUM_OFFSET: 16
; COMPUTE_PGM_RSRC3_GFX90A:TG_SPLIT: 0
	.section	.text._ZN5aiter36gated_rmsnorm_fp8_group_quant_kernelIDF16_DB8_Li128ELi16ELi256ELb0EEEvPT0_PfPKT_S7_S7_diiillll,"axG",@progbits,_ZN5aiter36gated_rmsnorm_fp8_group_quant_kernelIDF16_DB8_Li128ELi16ELi256ELb0EEEvPT0_PfPKT_S7_S7_diiillll,comdat
	.protected	_ZN5aiter36gated_rmsnorm_fp8_group_quant_kernelIDF16_DB8_Li128ELi16ELi256ELb0EEEvPT0_PfPKT_S7_S7_diiillll ; -- Begin function _ZN5aiter36gated_rmsnorm_fp8_group_quant_kernelIDF16_DB8_Li128ELi16ELi256ELb0EEEvPT0_PfPKT_S7_S7_diiillll
	.globl	_ZN5aiter36gated_rmsnorm_fp8_group_quant_kernelIDF16_DB8_Li128ELi16ELi256ELb0EEEvPT0_PfPKT_S7_S7_diiillll
	.p2align	8
	.type	_ZN5aiter36gated_rmsnorm_fp8_group_quant_kernelIDF16_DB8_Li128ELi16ELi256ELb0EEEvPT0_PfPKT_S7_S7_diiillll,@function
_ZN5aiter36gated_rmsnorm_fp8_group_quant_kernelIDF16_DB8_Li128ELi16ELi256ELb0EEEvPT0_PfPKT_S7_S7_diiillll: ; @_ZN5aiter36gated_rmsnorm_fp8_group_quant_kernelIDF16_DB8_Li128ELi16ELi256ELb0EEEvPT0_PfPKT_S7_S7_diiillll
; %bb.0:
	s_load_dwordx4 s[20:23], s[0:1], 0x30
	v_lshrrev_b32_e32 v1, 3, v0
	v_and_b32_e32 v2, 0x78, v1
	v_lshl_add_u32 v2, s3, 5, v2
	v_and_or_b32 v19, v1, 7, v2
	s_waitcnt lgkmcnt(0)
	s_cmp_lt_i32 s2, s20
	s_cselect_b64 s[4:5], -1, 0
	v_cmp_gt_i32_e32 vcc, s21, v19
	s_and_b64 s[4:5], s[4:5], vcc
	s_and_saveexec_b64 s[6:7], s[4:5]
	s_cbranch_execz .LBB4_3
; %bb.1:
	s_load_dwordx8 s[12:19], s[0:1], 0x40
	s_load_dwordx8 s[4:11], s[0:1], 0x10
	v_ashrrev_i32_e32 v2, 31, v19
	v_and_b32_e32 v18, 7, v0
	s_ashr_i32 s3, s2, 31
	s_waitcnt lgkmcnt(0)
	s_mul_i32 s13, s2, s13
	s_mul_hi_u32 s20, s2, s12
	v_mul_lo_u32 v3, v19, s15
	v_mul_lo_u32 v4, v2, s14
	v_mad_u64_u32 v[0:1], s[14:15], v19, s14, 0
	s_add_i32 s13, s20, s13
	s_mul_i32 s20, s3, s12
	s_mul_i32 s14, s2, s17
	s_mul_hi_u32 s15, s2, s16
	s_add_i32 s13, s13, s20
	s_mul_i32 s12, s2, s12
	s_add_i32 s14, s15, s14
	s_mul_i32 s3, s3, s16
	s_add_i32 s15, s14, s3
	s_lshl_b64 s[12:13], s[12:13], 1
	s_add_u32 s4, s4, s12
	v_add3_u32 v1, v1, v3, v4
	s_addc_u32 s5, s5, s13
	v_mov_b32_e32 v17, 0
	v_lshlrev_b32_e32 v24, 5, v18
	v_lshl_add_u64 v[0:1], v[0:1], 1, s[4:5]
	v_mov_b32_e32 v25, v17
	v_lshl_add_u64 v[0:1], v[0:1], 0, v[24:25]
	global_load_dwordx4 v[8:11], v24, s[8:9]
	global_load_dwordx4 v[12:15], v[0:1], off
	global_load_dwordx4 v[20:23], v[0:1], off offset:16
	s_mul_i32 s14, s2, s16
	v_mad_u64_u32 v[0:1], s[4:5], v19, s18, 0
	s_lshl_b64 s[4:5], s[14:15], 1
	v_mul_lo_u32 v3, v19, s19
	v_mul_lo_u32 v2, v2, s18
	s_add_u32 s4, s6, s4
	v_add3_u32 v1, v1, v3, v2
	s_addc_u32 s5, s7, s5
	v_lshl_add_u64 v[0:1], v[0:1], 1, s[4:5]
	v_lshl_add_u64 v[30:31], v[0:1], 0, v[24:25]
	global_load_dwordx4 v[4:7], v[30:31], off
	global_load_dwordx4 v[0:3], v[30:31], off offset:16
	global_load_dwordx4 v[26:29], v24, s[8:9] offset:16
	v_mbcnt_lo_u32_b32 v16, -1, 0
	v_mbcnt_hi_u32_b32 v24, -1, v16
	v_and_b32_e32 v16, 64, v24
	v_xor_b32_e32 v25, 4, v24
	v_add_u32_e32 v32, 64, v16
	v_cmp_lt_i32_e32 vcc, v25, v32
	v_xor_b32_e32 v31, 2, v24
	s_mov_b32 s3, 0x800000
	v_cndmask_b32_e32 v16, v24, v25, vcc
	v_lshlrev_b32_e32 v16, 2, v16
	v_cmp_lt_i32_e32 vcc, v31, v32
	s_mov_b32 s4, 0xb2a5705f
	s_mov_b32 s5, 0x42ce8ed0
	;; [unrolled: 1-line block ×3, first 2 shown]
	s_mul_i32 s2, s2, s21
	s_waitcnt vmcnt(5)
	v_cvt_f32_f16_e32 v40, v10
	v_cvt_f32_f16_sdwa v41, v10 dst_sel:DWORD dst_unused:UNUSED_PAD src0_sel:WORD_1
	s_waitcnt vmcnt(4)
	v_cvt_f32_f16_e32 v10, v12
	v_cvt_f32_f16_sdwa v12, v12 dst_sel:DWORD dst_unused:UNUSED_PAD src0_sel:WORD_1
	v_cvt_f32_f16_e32 v43, v13
	v_cvt_f32_f16_sdwa v13, v13 dst_sel:DWORD dst_unused:UNUSED_PAD src0_sel:WORD_1
	v_cvt_f32_f16_e32 v34, v8
	v_cvt_f32_f16_sdwa v36, v8 dst_sel:DWORD dst_unused:UNUSED_PAD src0_sel:WORD_1
	v_cvt_f32_f16_e32 v44, v14
	v_mul_f32_e32 v8, v10, v10
	v_cvt_f32_f16_e32 v37, v9
	v_cvt_f32_f16_sdwa v39, v9 dst_sel:DWORD dst_unused:UNUSED_PAD src0_sel:WORD_1
	v_cvt_f32_f16_sdwa v14, v14 dst_sel:DWORD dst_unused:UNUSED_PAD src0_sel:WORD_1
	v_mul_f32_e32 v9, v12, v12
	v_add_f32_e32 v8, 0, v8
	v_cvt_f32_f16_e32 v45, v15
	s_waitcnt vmcnt(3)
	v_cvt_f32_f16_e32 v47, v21
	v_cvt_f32_f16_sdwa v48, v21 dst_sel:DWORD dst_unused:UNUSED_PAD src0_sel:WORD_1
	v_mul_f32_e32 v21, v43, v43
	v_add_f32_e32 v8, v8, v9
	v_cvt_f32_f16_sdwa v15, v15 dst_sel:DWORD dst_unused:UNUSED_PAD src0_sel:WORD_1
	v_cvt_f32_f16_e32 v50, v23
	v_cvt_f32_f16_sdwa v51, v23 dst_sel:DWORD dst_unused:UNUSED_PAD src0_sel:WORD_1
	v_mul_f32_e32 v23, v13, v13
	v_add_f32_e32 v8, v8, v21
	v_cvt_f32_f16_e32 v46, v20
	v_mul_f32_e32 v30, v44, v44
	v_add_f32_e32 v8, v8, v23
	v_cvt_f32_f16_sdwa v20, v20 dst_sel:DWORD dst_unused:UNUSED_PAD src0_sel:WORD_1
	v_mul_f32_e32 v33, v14, v14
	v_add_f32_e32 v8, v8, v30
	v_mul_f32_e32 v35, v45, v45
	v_add_f32_e32 v8, v8, v33
	;; [unrolled: 2-line block ×3, first 2 shown]
	v_cvt_f32_f16_e32 v49, v22
	v_mul_f32_e32 v55, v46, v46
	v_add_f32_e32 v8, v8, v38
	v_cvt_f32_f16_sdwa v22, v22 dst_sel:DWORD dst_unused:UNUSED_PAD src0_sel:WORD_1
	v_mul_f32_e32 v9, v20, v20
	v_add_f32_e32 v8, v8, v55
	v_mul_f32_e32 v21, v47, v47
	v_add_f32_e32 v8, v8, v9
	;; [unrolled: 2-line block ×7, first 2 shown]
	v_add_f32_e32 v8, v8, v38
	ds_bpermute_b32 v9, v16, v8
	v_cvt_f32_f16_e32 v42, v11
	v_cvt_f32_f16_sdwa v23, v11 dst_sel:DWORD dst_unused:UNUSED_PAD src0_sel:WORD_1
	v_mul_f32_e32 v13, v13, v39
	s_waitcnt vmcnt(0)
	v_cvt_f32_f16_e32 v55, v26
	s_waitcnt lgkmcnt(0)
	v_add_f32_e32 v9, v8, v9
	v_cndmask_b32_e32 v8, v24, v31, vcc
	v_lshlrev_b32_e32 v8, 2, v8
	ds_bpermute_b32 v21, v8, v9
	v_cvt_f32_f16_sdwa v26, v26 dst_sel:DWORD dst_unused:UNUSED_PAD src0_sel:WORD_1
	v_cvt_f32_f16_e32 v56, v27
	v_cvt_f32_f16_sdwa v57, v27 dst_sel:DWORD dst_unused:UNUSED_PAD src0_sel:WORD_1
	v_cvt_f32_f16_e32 v58, v28
	s_waitcnt lgkmcnt(0)
	v_add_f32_e32 v11, v9, v21
	v_xor_b32_e32 v9, 1, v24
	v_cmp_lt_i32_e32 vcc, v9, v32
	v_cvt_f32_f16_sdwa v59, v28 dst_sel:DWORD dst_unused:UNUSED_PAD src0_sel:WORD_1
	v_mul_f32_e32 v28, v10, v34
	v_cndmask_b32_e32 v9, v24, v9, vcc
	v_lshlrev_b32_e32 v9, 2, v9
	ds_bpermute_b32 v21, v9, v11
	v_mul_f32_e32 v34, v43, v37
	v_mul_f32_e32 v32, v12, v36
	v_cvt_f32_f16_e32 v52, v4
	v_cvt_f32_f16_sdwa v53, v4 dst_sel:DWORD dst_unused:UNUSED_PAD src0_sel:WORD_1
	s_waitcnt lgkmcnt(0)
	v_add_f32_e32 v11, v11, v21
	v_cvt_f32_f64_e32 v21, s[10:11]
	v_fmamk_f32 v11, v11, 0x3c000000, v21
	v_mul_f32_e32 v21, 0x4b800000, v11
	v_cmp_gt_f32_e32 vcc, s3, v11
	s_mov_b32 s3, 0xbfb8aa3b
	v_cvt_f32_f16_e32 v54, v5
	v_cndmask_b32_e32 v11, v11, v21, vcc
	v_rsq_f32_e32 v11, v11
	v_cvt_f32_f16_sdwa v25, v5 dst_sel:DWORD dst_unused:UNUSED_PAD src0_sel:WORD_1
	v_cvt_f32_f16_e32 v38, v6
	v_cvt_f32_f16_sdwa v30, v6 dst_sel:DWORD dst_unused:UNUSED_PAD src0_sel:WORD_1
	v_mul_f32_e32 v21, 0x45800000, v11
	v_cndmask_b32_e32 v62, v11, v21, vcc
	v_mul_f32_e32 v65, v62, v13
	v_mul_f32_e32 v13, v44, v40
	;; [unrolled: 1-line block ×23, first 2 shown]
	v_fma_mix_f32 v14, v4, s3, -v13 op_sel_hi:[1,0,0]
	v_rndne_f32_e32 v15, v13
	v_fma_mix_f32 v14, v4, s4, v14 op_sel_hi:[1,0,0]
	v_sub_f32_e32 v13, v13, v15
	v_add_f32_e32 v13, v13, v14
	v_exp_f32_e32 v13, v13
	v_cvt_i32_f32_e32 v14, v15
	v_cmp_nlt_f32_e32 vcc, s5, v52
	v_mov_b32_e32 v20, 0x7f800000
	v_cvt_f32_f16_e32 v35, v7
	v_ldexp_f32 v13, v13, v14
	v_cndmask_b32_e32 v13, 0, v13, vcc
	v_cmp_ngt_f32_e32 vcc, s6, v52
	v_cvt_f32_f16_sdwa v33, v7 dst_sel:DWORD dst_unused:UNUSED_PAD src0_sel:WORD_1
	v_cvt_f32_f16_e32 v31, v0
	v_cndmask_b32_e32 v13, v20, v13, vcc
	v_add_f32_e32 v14, 1.0, v13
	v_div_scale_f32 v41, s[8:9], v14, v14, 1.0
	v_rcp_f32_e32 v42, v41
	v_cvt_f32_f16_e32 v60, v29
	v_cvt_f32_f16_sdwa v61, v29 dst_sel:DWORD dst_unused:UNUSED_PAD src0_sel:WORD_1
	v_cvt_f32_f16_sdwa v29, v0 dst_sel:DWORD dst_unused:UNUSED_PAD src0_sel:WORD_1
	v_fma_f32 v44, -v41, v42, 1.0
	v_fmac_f32_e32 v42, v44, v42
	v_div_scale_f32 v44, vcc, 1.0, v14, 1.0
	v_mul_f32_e32 v45, v44, v42
	v_fma_f32 v46, -v41, v45, v44
	v_fmac_f32_e32 v45, v46, v42
	v_mul_f32_e32 v46, 0xbfb8aa3b, v53
	v_fma_mix_f32 v47, v4, s3, -v46 op_sel:[1,0,0] op_sel_hi:[1,0,0]
	v_fma_f32 v41, -v41, v45, v44
	v_fma_mix_f32 v4, v4, s4, v47 op_sel:[1,0,0] op_sel_hi:[1,0,0]
	v_rndne_f32_e32 v47, v46
	v_sub_f32_e32 v46, v46, v47
	v_add_f32_e32 v4, v46, v4
	v_exp_f32_e32 v4, v4
	v_cvt_i32_f32_e32 v46, v47
	v_div_fmas_f32 v41, v41, v42, v45
	v_cmp_nlt_f32_e32 vcc, s5, v53
	v_cvt_f32_f16_e32 v27, v1
	v_ldexp_f32 v4, v4, v46
	v_cndmask_b32_e32 v4, 0, v4, vcc
	v_cmp_ngt_f32_e32 vcc, s6, v53
	v_cvt_f32_f16_sdwa v24, v1 dst_sel:DWORD dst_unused:UNUSED_PAD src0_sel:WORD_1
	v_cvt_f32_f16_e32 v21, v2
	v_cndmask_b32_e32 v4, v20, v4, vcc
	v_add_f32_e32 v42, 1.0, v4
	v_div_scale_f32 v44, s[8:9], v42, v42, 1.0
	v_rcp_f32_e32 v45, v44
	v_div_fixup_f32 v4, v41, v14, 1.0
	v_mul_f32_e32 v4, v4, v52
	v_mul_f32_e32 v4, v43, v4
	v_fma_f32 v14, -v44, v45, 1.0
	v_fmac_f32_e32 v45, v14, v45
	v_div_scale_f32 v14, vcc, 1.0, v42, 1.0
	v_mul_f32_e32 v41, v14, v45
	v_fma_f32 v43, -v44, v41, v14
	v_fmac_f32_e32 v41, v43, v45
	v_mul_f32_e32 v43, 0xbfb8aa3b, v54
	v_fma_mix_f32 v46, v5, s3, -v43 op_sel_hi:[1,0,0]
	v_rndne_f32_e32 v47, v43
	v_fma_mix_f32 v46, v5, s4, v46 op_sel_hi:[1,0,0]
	v_sub_f32_e32 v43, v43, v47
	v_add_f32_e32 v43, v43, v46
	v_exp_f32_e32 v43, v43
	v_cvt_i32_f32_e32 v46, v47
	v_fma_f32 v14, -v44, v41, v14
	v_div_fmas_f32 v14, v14, v45, v41
	v_cmp_nlt_f32_e32 vcc, s5, v54
	v_ldexp_f32 v41, v43, v46
	v_div_fixup_f32 v14, v14, v42, 1.0
	v_cndmask_b32_e32 v41, 0, v41, vcc
	v_cmp_ngt_f32_e32 vcc, s6, v54
	v_cvt_f32_f16_sdwa v12, v2 dst_sel:DWORD dst_unused:UNUSED_PAD src0_sel:WORD_1
	v_cvt_f32_f16_e32 v11, v3
	v_cndmask_b32_e32 v41, v20, v41, vcc
	v_add_f32_e32 v41, 1.0, v41
	v_div_scale_f32 v43, s[8:9], v41, v41, 1.0
	v_rcp_f32_e32 v44, v43
	v_mul_f32_e32 v15, v22, v59
	v_mul_f32_e32 v22, v62, v15
	v_cvt_f32_f16_sdwa v10, v3 dst_sel:DWORD dst_unused:UNUSED_PAD src0_sel:WORD_1
	v_fma_f32 v42, -v43, v44, 1.0
	v_fmac_f32_e32 v44, v42, v44
	v_div_scale_f32 v42, vcc, 1.0, v41, 1.0
	v_mul_f32_e32 v45, v42, v44
	v_fma_f32 v46, -v43, v45, v42
	v_fmac_f32_e32 v45, v46, v44
	v_mul_f32_e32 v46, 0xbfb8aa3b, v25
	v_fma_mix_f32 v47, v5, s3, -v46 op_sel:[1,0,0] op_sel_hi:[1,0,0]
	v_fma_f32 v42, -v43, v45, v42
	v_fma_mix_f32 v5, v5, s4, v47 op_sel:[1,0,0] op_sel_hi:[1,0,0]
	v_rndne_f32_e32 v47, v46
	v_sub_f32_e32 v46, v46, v47
	v_add_f32_e32 v5, v46, v5
	v_exp_f32_e32 v5, v5
	v_cvt_i32_f32_e32 v46, v47
	v_div_fmas_f32 v42, v42, v44, v45
	v_cmp_nlt_f32_e32 vcc, s5, v25
	v_mul_f32_e32 v15, v50, v60
	v_ldexp_f32 v5, v5, v46
	v_cndmask_b32_e32 v5, 0, v5, vcc
	v_cmp_ngt_f32_e32 vcc, s6, v25
	v_mul_f32_e32 v15, v62, v15
	v_mul_f32_e32 v13, v51, v61
	v_cndmask_b32_e32 v5, v20, v5, vcc
	v_add_f32_e32 v43, 1.0, v5
	v_div_scale_f32 v44, s[8:9], v43, v43, 1.0
	v_rcp_f32_e32 v45, v44
	v_div_fixup_f32 v5, v42, v41, 1.0
	v_mul_f32_e32 v14, v14, v53
	v_mul_f32_e32 v13, v62, v13
	v_fma_f32 v41, -v44, v45, 1.0
	v_fmac_f32_e32 v45, v41, v45
	v_div_scale_f32 v41, vcc, 1.0, v43, 1.0
	v_mul_f32_e32 v42, v41, v45
	v_fma_f32 v46, -v44, v42, v41
	v_fmac_f32_e32 v42, v46, v45
	v_mul_f32_e32 v46, 0xbfb8aa3b, v38
	v_fma_mix_f32 v47, v6, s3, -v46 op_sel_hi:[1,0,0]
	v_rndne_f32_e32 v48, v46
	v_fma_mix_f32 v47, v6, s4, v47 op_sel_hi:[1,0,0]
	v_sub_f32_e32 v46, v46, v48
	v_add_f32_e32 v46, v46, v47
	v_exp_f32_e32 v46, v46
	v_cvt_i32_f32_e32 v47, v48
	v_fma_f32 v41, -v44, v42, v41
	v_div_fmas_f32 v41, v41, v45, v42
	v_cmp_nlt_f32_e32 vcc, s5, v38
	v_ldexp_f32 v42, v46, v47
	v_div_fixup_f32 v41, v41, v43, 1.0
	v_cndmask_b32_e32 v42, 0, v42, vcc
	v_cmp_ngt_f32_e32 vcc, s6, v38
	v_mul_f32_e32 v25, v41, v25
	v_mul_f32_e32 v14, v63, v14
	v_cndmask_b32_e32 v42, v20, v42, vcc
	v_add_f32_e32 v42, 1.0, v42
	v_div_scale_f32 v44, s[8:9], v42, v42, 1.0
	v_rcp_f32_e32 v45, v44
	v_mul_f32_e32 v5, v5, v54
	v_mul_f32_e32 v5, v64, v5
	;; [unrolled: 1-line block ×3, first 2 shown]
	v_fma_f32 v41, -v44, v45, 1.0
	v_fmac_f32_e32 v45, v41, v45
	v_div_scale_f32 v41, vcc, 1.0, v42, 1.0
	v_mul_f32_e32 v43, v41, v45
	v_fma_f32 v46, -v44, v43, v41
	v_fmac_f32_e32 v43, v46, v45
	v_mul_f32_e32 v46, 0xbfb8aa3b, v30
	v_fma_mix_f32 v47, v6, s3, -v46 op_sel:[1,0,0] op_sel_hi:[1,0,0]
	v_fma_f32 v41, -v44, v43, v41
	v_fma_mix_f32 v6, v6, s4, v47 op_sel:[1,0,0] op_sel_hi:[1,0,0]
	v_rndne_f32_e32 v47, v46
	v_sub_f32_e32 v46, v46, v47
	v_add_f32_e32 v6, v46, v6
	v_exp_f32_e32 v6, v6
	v_cvt_i32_f32_e32 v46, v47
	v_div_fmas_f32 v41, v41, v45, v43
	v_cmp_nlt_f32_e32 vcc, s5, v30
	v_ldexp_f32 v6, v6, v46
	s_nop 0
	v_cndmask_b32_e32 v6, 0, v6, vcc
	v_cmp_ngt_f32_e32 vcc, s6, v30
	s_nop 1
	v_cndmask_b32_e32 v6, v20, v6, vcc
	v_add_f32_e32 v43, 1.0, v6
	v_div_scale_f32 v44, s[8:9], v43, v43, 1.0
	v_rcp_f32_e32 v45, v44
	v_div_fixup_f32 v6, v41, v42, 1.0
	v_mul_f32_e32 v6, v6, v38
	v_mul_f32_e32 v6, v40, v6
	v_fma_f32 v38, -v44, v45, 1.0
	v_fmac_f32_e32 v45, v38, v45
	v_div_scale_f32 v38, vcc, 1.0, v43, 1.0
	v_mul_f32_e32 v40, v38, v45
	v_fma_f32 v41, -v44, v40, v38
	v_fmac_f32_e32 v40, v41, v45
	v_mul_f32_e32 v41, 0xbfb8aa3b, v35
	v_fma_mix_f32 v42, v7, s3, -v41 op_sel_hi:[1,0,0]
	v_rndne_f32_e32 v46, v41
	v_fma_mix_f32 v42, v7, s4, v42 op_sel_hi:[1,0,0]
	v_sub_f32_e32 v41, v41, v46
	v_add_f32_e32 v41, v41, v42
	v_exp_f32_e32 v41, v41
	v_cvt_i32_f32_e32 v42, v46
	v_fma_f32 v38, -v44, v40, v38
	v_div_fmas_f32 v38, v38, v45, v40
	v_cmp_nlt_f32_e32 vcc, s5, v35
	v_ldexp_f32 v40, v41, v42
	v_div_fixup_f32 v38, v38, v43, 1.0
	v_cndmask_b32_e32 v40, 0, v40, vcc
	v_cmp_ngt_f32_e32 vcc, s6, v35
	v_mul_f32_e32 v30, v38, v30
	v_mul_f32_e32 v30, v39, v30
	v_cndmask_b32_e32 v40, v20, v40, vcc
	v_add_f32_e32 v40, 1.0, v40
	v_div_scale_f32 v41, s[8:9], v40, v40, 1.0
	v_rcp_f32_e32 v42, v41
	s_nop 0
	v_fma_f32 v38, -v41, v42, 1.0
	v_fmac_f32_e32 v42, v38, v42
	v_div_scale_f32 v38, vcc, 1.0, v40, 1.0
	v_mul_f32_e32 v39, v38, v42
	v_fma_f32 v43, -v41, v39, v38
	v_fmac_f32_e32 v39, v43, v42
	v_mul_f32_e32 v43, 0xbfb8aa3b, v33
	v_fma_mix_f32 v44, v7, s3, -v43 op_sel:[1,0,0] op_sel_hi:[1,0,0]
	v_fma_f32 v38, -v41, v39, v38
	v_fma_mix_f32 v7, v7, s4, v44 op_sel:[1,0,0] op_sel_hi:[1,0,0]
	v_rndne_f32_e32 v44, v43
	v_sub_f32_e32 v43, v43, v44
	v_add_f32_e32 v7, v43, v7
	v_exp_f32_e32 v7, v7
	v_cvt_i32_f32_e32 v43, v44
	v_div_fmas_f32 v38, v38, v42, v39
	v_cmp_nlt_f32_e32 vcc, s5, v33
	v_ldexp_f32 v7, v7, v43
	s_nop 0
	v_cndmask_b32_e32 v7, 0, v7, vcc
	v_cmp_ngt_f32_e32 vcc, s6, v33
	s_nop 1
	v_cndmask_b32_e32 v7, v20, v7, vcc
	v_add_f32_e32 v39, 1.0, v7
	v_div_scale_f32 v41, s[8:9], v39, v39, 1.0
	v_rcp_f32_e32 v42, v41
	v_div_fixup_f32 v7, v38, v40, 1.0
	v_mul_f32_e32 v7, v7, v35
	v_mul_f32_e32 v7, v37, v7
	v_fma_f32 v35, -v41, v42, 1.0
	v_fmac_f32_e32 v42, v35, v42
	v_div_scale_f32 v35, vcc, 1.0, v39, 1.0
	v_mul_f32_e32 v37, v35, v42
	v_fma_f32 v38, -v41, v37, v35
	v_fmac_f32_e32 v37, v38, v42
	v_mul_f32_e32 v38, 0xbfb8aa3b, v31
	v_fma_mix_f32 v40, v0, s3, -v38 op_sel_hi:[1,0,0]
	v_rndne_f32_e32 v43, v38
	v_fma_mix_f32 v40, v0, s4, v40 op_sel_hi:[1,0,0]
	v_sub_f32_e32 v38, v38, v43
	v_add_f32_e32 v38, v38, v40
	v_exp_f32_e32 v38, v38
	v_cvt_i32_f32_e32 v40, v43
	v_fma_f32 v35, -v41, v37, v35
	v_div_fmas_f32 v35, v35, v42, v37
	v_cmp_nlt_f32_e32 vcc, s5, v31
	v_ldexp_f32 v37, v38, v40
	v_div_fixup_f32 v35, v35, v39, 1.0
	v_cndmask_b32_e32 v37, 0, v37, vcc
	v_cmp_ngt_f32_e32 vcc, s6, v31
	v_mul_f32_e32 v33, v35, v33
	v_mul_f32_e32 v33, v36, v33
	v_cndmask_b32_e32 v37, v20, v37, vcc
	v_add_f32_e32 v37, 1.0, v37
	v_div_scale_f32 v38, s[8:9], v37, v37, 1.0
	v_rcp_f32_e32 v40, v38
	s_nop 0
	v_fma_f32 v35, -v38, v40, 1.0
	v_fmac_f32_e32 v40, v35, v40
	v_div_scale_f32 v35, vcc, 1.0, v37, 1.0
	v_mul_f32_e32 v36, v35, v40
	v_fma_f32 v39, -v38, v36, v35
	v_fmac_f32_e32 v36, v39, v40
	v_mul_f32_e32 v39, 0xbfb8aa3b, v29
	v_fma_mix_f32 v41, v0, s3, -v39 op_sel:[1,0,0] op_sel_hi:[1,0,0]
	v_fma_f32 v35, -v38, v36, v35
	v_fma_mix_f32 v0, v0, s4, v41 op_sel:[1,0,0] op_sel_hi:[1,0,0]
	v_rndne_f32_e32 v41, v39
	v_sub_f32_e32 v39, v39, v41
	v_add_f32_e32 v0, v39, v0
	v_exp_f32_e32 v0, v0
	v_cvt_i32_f32_e32 v39, v41
	v_div_fmas_f32 v35, v35, v40, v36
	v_cmp_nlt_f32_e32 vcc, s5, v29
	v_div_fixup_f32 v35, v35, v37, 1.0
	v_ldexp_f32 v0, v0, v39
	v_cndmask_b32_e32 v0, 0, v0, vcc
	v_cmp_ngt_f32_e32 vcc, s6, v29
	v_mul_f32_e32 v31, v35, v31
	v_mul_f32_e32 v31, v34, v31
	v_cndmask_b32_e32 v0, v20, v0, vcc
	v_add_f32_e32 v0, 1.0, v0
	v_div_scale_f32 v36, s[8:9], v0, v0, 1.0
	v_rcp_f32_e32 v38, v36
	s_nop 0
	v_fma_f32 v34, -v36, v38, 1.0
	v_fmac_f32_e32 v38, v34, v38
	v_div_scale_f32 v34, vcc, 1.0, v0, 1.0
	v_mul_f32_e32 v35, v34, v38
	v_fma_f32 v37, -v36, v35, v34
	v_fmac_f32_e32 v35, v37, v38
	v_mul_f32_e32 v37, 0xbfb8aa3b, v27
	v_fma_mix_f32 v39, v1, s3, -v37 op_sel_hi:[1,0,0]
	v_rndne_f32_e32 v40, v37
	v_fma_mix_f32 v39, v1, s4, v39 op_sel_hi:[1,0,0]
	v_sub_f32_e32 v37, v37, v40
	v_add_f32_e32 v37, v37, v39
	v_exp_f32_e32 v37, v37
	v_cvt_i32_f32_e32 v39, v40
	v_fma_f32 v34, -v36, v35, v34
	v_div_fmas_f32 v34, v34, v38, v35
	v_cmp_nlt_f32_e32 vcc, s5, v27
	v_ldexp_f32 v35, v37, v39
	v_div_fixup_f32 v0, v34, v0, 1.0
	v_cndmask_b32_e32 v35, 0, v35, vcc
	v_cmp_ngt_f32_e32 vcc, s6, v27
	v_mul_f32_e32 v0, v0, v29
	v_mul_f32_e32 v29, v32, v0
	v_cndmask_b32_e32 v35, v20, v35, vcc
	v_add_f32_e32 v35, 1.0, v35
	v_div_scale_f32 v36, s[8:9], v35, v35, 1.0
	v_rcp_f32_e32 v37, v36
	s_nop 0
	v_fma_f32 v0, -v36, v37, 1.0
	v_fmac_f32_e32 v37, v0, v37
	v_div_scale_f32 v0, vcc, 1.0, v35, 1.0
	v_mul_f32_e32 v32, v0, v37
	v_fma_f32 v34, -v36, v32, v0
	v_fmac_f32_e32 v32, v34, v37
	v_mul_f32_e32 v34, 0xbfb8aa3b, v24
	v_fma_mix_f32 v38, v1, s3, -v34 op_sel:[1,0,0] op_sel_hi:[1,0,0]
	v_fma_f32 v0, -v36, v32, v0
	v_fma_mix_f32 v1, v1, s4, v38 op_sel:[1,0,0] op_sel_hi:[1,0,0]
	v_rndne_f32_e32 v38, v34
	v_sub_f32_e32 v34, v34, v38
	v_add_f32_e32 v1, v34, v1
	v_exp_f32_e32 v1, v1
	v_cvt_i32_f32_e32 v34, v38
	v_div_fmas_f32 v0, v0, v37, v32
	v_cmp_nlt_f32_e32 vcc, s5, v24
	v_div_fixup_f32 v0, v0, v35, 1.0
	v_ldexp_f32 v1, v1, v34
	v_cndmask_b32_e32 v1, 0, v1, vcc
	v_cmp_ngt_f32_e32 vcc, s6, v24
	v_mul_f32_e32 v0, v0, v27
	s_nop 0
	v_cndmask_b32_e32 v1, v20, v1, vcc
	v_add_f32_e32 v32, 1.0, v1
	v_div_scale_f32 v34, s[8:9], v32, v32, 1.0
	v_rcp_f32_e32 v36, v34
	v_mul_f32_e32 v1, v28, v0
	v_fma_f32 v0, -v34, v36, 1.0
	v_fmac_f32_e32 v36, v0, v36
	v_div_scale_f32 v0, vcc, 1.0, v32, 1.0
	v_mul_f32_e32 v27, v0, v36
	v_fma_f32 v28, -v34, v27, v0
	v_fmac_f32_e32 v27, v28, v36
	v_mul_f32_e32 v28, 0xbfb8aa3b, v21
	v_fma_mix_f32 v35, v2, s3, -v28 op_sel_hi:[1,0,0]
	v_rndne_f32_e32 v37, v28
	v_fma_mix_f32 v35, v2, s4, v35 op_sel_hi:[1,0,0]
	v_sub_f32_e32 v28, v28, v37
	v_add_f32_e32 v28, v28, v35
	v_exp_f32_e32 v28, v28
	v_cvt_i32_f32_e32 v35, v37
	v_fma_f32 v0, -v34, v27, v0
	v_div_fmas_f32 v0, v0, v36, v27
	v_cmp_nlt_f32_e32 vcc, s5, v21
	v_ldexp_f32 v27, v28, v35
	v_div_fixup_f32 v0, v0, v32, 1.0
	v_cndmask_b32_e32 v27, 0, v27, vcc
	v_cmp_ngt_f32_e32 vcc, s6, v21
	v_mul_f32_e32 v0, v0, v24
	v_mul_f32_e32 v24, v26, v0
	v_cndmask_b32_e32 v27, v20, v27, vcc
	v_add_f32_e32 v27, 1.0, v27
	v_div_scale_f32 v28, s[8:9], v27, v27, 1.0
	v_rcp_f32_e32 v34, v28
	s_nop 0
	v_fma_f32 v0, -v28, v34, 1.0
	v_fmac_f32_e32 v34, v0, v34
	v_div_scale_f32 v0, vcc, 1.0, v27, 1.0
	v_mul_f32_e32 v26, v0, v34
	v_fma_f32 v32, -v28, v26, v0
	v_fmac_f32_e32 v26, v32, v34
	v_mul_f32_e32 v32, 0xbfb8aa3b, v12
	v_fma_mix_f32 v35, v2, s3, -v32 op_sel:[1,0,0] op_sel_hi:[1,0,0]
	v_fma_f32 v0, -v28, v26, v0
	v_fma_mix_f32 v2, v2, s4, v35 op_sel:[1,0,0] op_sel_hi:[1,0,0]
	v_rndne_f32_e32 v35, v32
	v_sub_f32_e32 v32, v32, v35
	v_add_f32_e32 v2, v32, v2
	v_exp_f32_e32 v2, v2
	v_cvt_i32_f32_e32 v32, v35
	v_div_fmas_f32 v0, v0, v34, v26
	v_cmp_nlt_f32_e32 vcc, s5, v12
	v_div_fixup_f32 v0, v0, v27, 1.0
	v_ldexp_f32 v2, v2, v32
	v_cndmask_b32_e32 v2, 0, v2, vcc
	v_cmp_ngt_f32_e32 vcc, s6, v12
	v_mul_f32_e32 v0, v0, v21
	v_mul_f32_e32 v21, v23, v0
	v_cndmask_b32_e32 v2, v20, v2, vcc
	v_add_f32_e32 v2, 1.0, v2
	v_div_scale_f32 v26, s[8:9], v2, v2, 1.0
	v_rcp_f32_e32 v28, v26
	s_nop 0
	v_fma_f32 v0, -v26, v28, 1.0
	v_fmac_f32_e32 v28, v0, v28
	v_div_scale_f32 v0, vcc, 1.0, v2, 1.0
	v_mul_f32_e32 v23, v0, v28
	v_fma_f32 v27, -v26, v23, v0
	v_fmac_f32_e32 v23, v27, v28
	v_mul_f32_e32 v27, 0xbfb8aa3b, v11
	v_fma_mix_f32 v32, v3, s3, -v27 op_sel_hi:[1,0,0]
	v_rndne_f32_e32 v34, v27
	v_fma_mix_f32 v32, v3, s4, v32 op_sel_hi:[1,0,0]
	v_sub_f32_e32 v27, v27, v34
	v_add_f32_e32 v27, v27, v32
	v_exp_f32_e32 v27, v27
	v_cvt_i32_f32_e32 v32, v34
	v_fma_f32 v0, -v26, v23, v0
	v_div_fmas_f32 v0, v0, v28, v23
	v_cmp_nlt_f32_e32 vcc, s5, v11
	v_ldexp_f32 v23, v27, v32
	v_div_fixup_f32 v0, v0, v2, 1.0
	v_cndmask_b32_e32 v23, 0, v23, vcc
	v_cmp_ngt_f32_e32 vcc, s6, v11
	v_mul_f32_e32 v0, v0, v12
	v_mul_f32_e32 v12, v22, v0
	v_cndmask_b32_e32 v23, v20, v23, vcc
	v_add_f32_e32 v23, 1.0, v23
	v_div_scale_f32 v26, s[8:9], v23, v23, 1.0
	v_rcp_f32_e32 v27, v26
	s_nop 0
	v_fma_f32 v0, -v26, v27, 1.0
	v_fmac_f32_e32 v27, v0, v27
	v_div_scale_f32 v0, vcc, 1.0, v23, 1.0
	v_mul_f32_e32 v2, v0, v27
	v_fma_f32 v22, -v26, v2, v0
	v_fmac_f32_e32 v2, v22, v27
	v_mul_f32_e32 v22, 0xbfb8aa3b, v10
	v_fma_mix_f32 v28, v3, s3, -v22 op_sel:[1,0,0] op_sel_hi:[1,0,0]
	v_fma_f32 v0, -v26, v2, v0
	v_fma_mix_f32 v3, v3, s4, v28 op_sel:[1,0,0] op_sel_hi:[1,0,0]
	v_rndne_f32_e32 v28, v22
	v_sub_f32_e32 v22, v22, v28
	v_add_f32_e32 v3, v22, v3
	v_exp_f32_e32 v3, v3
	v_cvt_i32_f32_e32 v22, v28
	v_div_fmas_f32 v0, v0, v27, v2
	v_cmp_nlt_f32_e32 vcc, s5, v10
	v_div_fixup_f32 v0, v0, v23, 1.0
	v_ldexp_f32 v2, v3, v22
	v_cndmask_b32_e32 v2, 0, v2, vcc
	v_cmp_ngt_f32_e32 vcc, s6, v10
	v_mul_f32_e32 v0, v0, v11
	v_mul_f32_e32 v11, v15, v0
	v_cndmask_b32_e32 v2, v20, v2, vcc
	v_add_f32_e32 v2, 1.0, v2
	v_div_scale_f32 v3, s[4:5], v2, v2, 1.0
	v_rcp_f32_e32 v20, v3
	s_mov_b32 s3, 0xff800000
	v_fma_f32 v0, -v3, v20, 1.0
	v_fmac_f32_e32 v20, v0, v20
	v_div_scale_f32 v0, vcc, 1.0, v2, 1.0
	v_mul_f32_e32 v15, v0, v20
	v_fma_f32 v22, -v3, v15, v0
	v_fmac_f32_e32 v15, v22, v20
	v_fma_f32 v0, -v3, v15, v0
	v_div_fmas_f32 v0, v0, v20, v15
	v_div_fixup_f32 v0, v0, v2, 1.0
	v_mul_f32_e32 v0, v0, v10
	v_mul_f32_e32 v3, v13, v0
	v_max3_f32 v0, |v4|, s3, |v14|
	v_max3_f32 v0, v0, |v5|, |v25|
	v_max3_f32 v0, v0, |v6|, |v30|
	;; [unrolled: 1-line block ×7, first 2 shown]
	ds_bpermute_b32 v2, v16, v0
	s_mov_b32 s3, 0x43700000
	v_lshlrev_b32_e32 v16, 4, v18
	s_waitcnt lgkmcnt(0)
	v_max_f32_e32 v2, v2, v2
	v_max_f32_e32 v0, v0, v2
	ds_bpermute_b32 v2, v8, v0
	s_waitcnt lgkmcnt(0)
	v_max_f32_e32 v2, v2, v2
	v_max_f32_e32 v0, v0, v2
	ds_bpermute_b32 v2, v9, v0
	s_waitcnt lgkmcnt(0)
	v_max_f32_e32 v2, v2, v2
	v_max_f32_e32 v0, v0, v2
	v_div_scale_f32 v2, s[4:5], s3, s3, v0
	v_rcp_f32_e32 v8, v2
	s_mov_b32 s4, 0x2edbe6ff
	v_fma_f32 v9, -v2, v8, 1.0
	v_fmac_f32_e32 v8, v9, v8
	v_div_scale_f32 v9, vcc, v0, s3, v0
	v_mul_f32_e32 v10, v9, v8
	v_fma_f32 v13, -v2, v10, v9
	v_fmac_f32_e32 v10, v13, v8
	v_fma_f32 v2, -v2, v10, v9
	v_div_fmas_f32 v2, v2, v8, v10
	v_div_fixup_f32 v2, v2, s3, v0
	v_mov_b32_e32 v8, 0x2edbe6ff
	v_cmp_lt_f32_e32 vcc, s4, v0
	s_nop 1
	v_cndmask_b32_e32 v2, v8, v2, vcc
	v_div_scale_f32 v0, s[4:5], v2, v2, 1.0
	v_rcp_f32_e32 v8, v0
	s_load_dwordx2 s[4:5], s[0:1], 0x0
	v_fma_f32 v9, -v0, v8, 1.0
	v_fmac_f32_e32 v8, v9, v8
	v_div_scale_f32 v9, vcc, 1.0, v2, 1.0
	v_mul_f32_e32 v10, v9, v8
	v_fma_f32 v13, -v0, v10, v9
	v_fmac_f32_e32 v10, v13, v8
	v_fma_f32 v0, -v0, v10, v9
	v_div_fmas_f32 v0, v0, v8, v10
	v_div_fixup_f32 v10, v0, v2, 1.0
	v_add_u32_e32 v0, s2, v19
	s_mov_b32 s2, 0xc3700000
	v_mov_b32_e32 v13, 0x43700000
	v_mul_f32_e32 v5, v10, v5
	v_mul_lo_u32 v8, v0, s22
	v_med3_f32 v5, v5, s2, v13
	v_ashrrev_i32_e32 v9, 31, v8
	v_cvt_pk_fp8_f32 v15, v5, 0
	v_mul_f32_e32 v5, v10, v25
	s_waitcnt lgkmcnt(0)
	v_lshl_add_u64 v[8:9], s[4:5], 0, v[8:9]
	v_med3_f32 v5, v5, s2, v13
	v_lshl_add_u64 v[8:9], v[8:9], 0, v[16:17]
	v_cvt_pk_fp8_f32 v16, v5, 0
	v_mul_f32_e32 v5, v10, v6
	v_mul_f32_e32 v6, v10, v30
	v_med3_f32 v6, v6, s2, v13
	v_mul_f32_e32 v17, v10, v33
	v_med3_f32 v5, v5, s2, v13
	v_cvt_pk_fp8_f32 v6, v6, 0
	v_mul_f32_e32 v7, v10, v7
	v_med3_f32 v17, v17, s2, v13
	v_cvt_pk_fp8_f32 v5, v5, 0
	v_med3_f32 v7, v7, s2, v13
	v_cvt_pk_fp8_f32 v17, v17, 0
	v_mul_f32_e32 v14, v10, v14
	v_cvt_pk_fp8_f32 v7, v7, 0
	v_mul_f32_e32 v4, v10, v4
	v_med3_f32 v14, v14, s2, v13
	v_med3_f32 v4, v4, s2, v13
	v_cvt_pk_fp8_f32 v14, v14, 0
	v_lshlrev_b16_e32 v6, 8, v6
	v_cvt_pk_fp8_f32 v4, v4, 0
	v_or_b32_sdwa v5, v5, v6 dst_sel:DWORD dst_unused:UNUSED_PAD src0_sel:BYTE_0 src1_sel:DWORD
	v_lshlrev_b16_e32 v6, 8, v17
	v_or_b32_sdwa v6, v7, v6 dst_sel:WORD_1 dst_unused:UNUSED_PAD src0_sel:BYTE_0 src1_sel:DWORD
	v_mul_f32_e32 v7, v10, v29
	v_med3_f32 v7, v7, s2, v13
	v_or_b32_sdwa v5, v5, v6 dst_sel:DWORD dst_unused:UNUSED_PAD src0_sel:WORD_0 src1_sel:DWORD
	v_lshlrev_b16_e32 v6, 8, v14
	v_cvt_pk_fp8_f32 v14, v7, 0
	v_mul_f32_e32 v7, v10, v24
	v_or_b32_sdwa v4, v4, v6 dst_sel:DWORD dst_unused:UNUSED_PAD src0_sel:BYTE_0 src1_sel:DWORD
	v_lshlrev_b16_e32 v6, 8, v16
	v_med3_f32 v7, v7, s2, v13
	v_mul_f32_e32 v12, v10, v12
	v_mul_f32_e32 v3, v10, v3
	v_or_b32_sdwa v6, v15, v6 dst_sel:WORD_1 dst_unused:UNUSED_PAD src0_sel:BYTE_0 src1_sel:DWORD
	v_cvt_pk_fp8_f32 v15, v7, 0
	v_mul_f32_e32 v7, v10, v21
	v_med3_f32 v12, v12, s2, v13
	v_mul_f32_e32 v11, v10, v11
	v_med3_f32 v3, v3, s2, v13
	v_med3_f32 v7, v7, s2, v13
	v_cvt_pk_fp8_f32 v12, v12, 0
	v_med3_f32 v11, v11, s2, v13
	v_cvt_pk_fp8_f32 v3, v3, 0
	v_or_b32_sdwa v4, v4, v6 dst_sel:DWORD dst_unused:UNUSED_PAD src0_sel:WORD_0 src1_sel:DWORD
	v_mul_f32_e32 v6, v10, v31
	v_mul_f32_e32 v1, v10, v1
	v_cvt_pk_fp8_f32 v7, v7, 0
	v_cvt_pk_fp8_f32 v10, v11, 0
	v_med3_f32 v6, v6, s2, v13
	v_cvt_pk_fp8_f32 v6, v6, 0
	v_med3_f32 v1, v1, s2, v13
	v_cvt_pk_fp8_f32 v1, v1, 0
	v_lshlrev_b16_e32 v11, 8, v12
	v_lshlrev_b16_e32 v3, 8, v3
	v_or_b32_sdwa v7, v7, v11 dst_sel:DWORD dst_unused:UNUSED_PAD src0_sel:BYTE_0 src1_sel:DWORD
	v_or_b32_sdwa v3, v10, v3 dst_sel:WORD_1 dst_unused:UNUSED_PAD src0_sel:BYTE_0 src1_sel:DWORD
	v_cmp_eq_u32_e32 vcc, 0, v18
	v_or_b32_sdwa v7, v7, v3 dst_sel:DWORD dst_unused:UNUSED_PAD src0_sel:WORD_0 src1_sel:DWORD
	v_lshlrev_b16_e32 v3, 8, v14
	v_or_b32_sdwa v3, v6, v3 dst_sel:DWORD dst_unused:UNUSED_PAD src0_sel:BYTE_0 src1_sel:DWORD
	v_lshlrev_b16_e32 v6, 8, v15
	v_or_b32_sdwa v1, v1, v6 dst_sel:WORD_1 dst_unused:UNUSED_PAD src0_sel:BYTE_0 src1_sel:DWORD
	s_nop 0
	v_or_b32_sdwa v6, v3, v1 dst_sel:DWORD dst_unused:UNUSED_PAD src0_sel:WORD_0 src1_sel:DWORD
	global_store_dwordx4 v[8:9], v[4:7], off
	s_and_b64 exec, exec, vcc
	s_cbranch_execz .LBB4_3
; %bb.2:
	s_load_dwordx2 s[0:1], s[0:1], 0x8
	v_ashrrev_i32_e32 v1, 31, v0
	s_waitcnt lgkmcnt(0)
	v_lshl_add_u64 v[0:1], v[0:1], 2, s[0:1]
	global_store_dword v[0:1], v2, off
.LBB4_3:
	s_endpgm
	.section	.rodata,"a",@progbits
	.p2align	6, 0x0
	.amdhsa_kernel _ZN5aiter36gated_rmsnorm_fp8_group_quant_kernelIDF16_DB8_Li128ELi16ELi256ELb0EEEvPT0_PfPKT_S7_S7_diiillll
		.amdhsa_group_segment_fixed_size 0
		.amdhsa_private_segment_fixed_size 0
		.amdhsa_kernarg_size 96
		.amdhsa_user_sgpr_count 2
		.amdhsa_user_sgpr_dispatch_ptr 0
		.amdhsa_user_sgpr_queue_ptr 0
		.amdhsa_user_sgpr_kernarg_segment_ptr 1
		.amdhsa_user_sgpr_dispatch_id 0
		.amdhsa_user_sgpr_kernarg_preload_length 0
		.amdhsa_user_sgpr_kernarg_preload_offset 0
		.amdhsa_user_sgpr_private_segment_size 0
		.amdhsa_uses_dynamic_stack 0
		.amdhsa_enable_private_segment 0
		.amdhsa_system_sgpr_workgroup_id_x 1
		.amdhsa_system_sgpr_workgroup_id_y 1
		.amdhsa_system_sgpr_workgroup_id_z 0
		.amdhsa_system_sgpr_workgroup_info 0
		.amdhsa_system_vgpr_workitem_id 0
		.amdhsa_next_free_vgpr 66
		.amdhsa_next_free_sgpr 24
		.amdhsa_accum_offset 68
		.amdhsa_reserve_vcc 1
		.amdhsa_float_round_mode_32 0
		.amdhsa_float_round_mode_16_64 0
		.amdhsa_float_denorm_mode_32 3
		.amdhsa_float_denorm_mode_16_64 3
		.amdhsa_dx10_clamp 1
		.amdhsa_ieee_mode 1
		.amdhsa_fp16_overflow 0
		.amdhsa_tg_split 0
		.amdhsa_exception_fp_ieee_invalid_op 0
		.amdhsa_exception_fp_denorm_src 0
		.amdhsa_exception_fp_ieee_div_zero 0
		.amdhsa_exception_fp_ieee_overflow 0
		.amdhsa_exception_fp_ieee_underflow 0
		.amdhsa_exception_fp_ieee_inexact 0
		.amdhsa_exception_int_div_zero 0
	.end_amdhsa_kernel
	.section	.text._ZN5aiter36gated_rmsnorm_fp8_group_quant_kernelIDF16_DB8_Li128ELi16ELi256ELb0EEEvPT0_PfPKT_S7_S7_diiillll,"axG",@progbits,_ZN5aiter36gated_rmsnorm_fp8_group_quant_kernelIDF16_DB8_Li128ELi16ELi256ELb0EEEvPT0_PfPKT_S7_S7_diiillll,comdat
.Lfunc_end4:
	.size	_ZN5aiter36gated_rmsnorm_fp8_group_quant_kernelIDF16_DB8_Li128ELi16ELi256ELb0EEEvPT0_PfPKT_S7_S7_diiillll, .Lfunc_end4-_ZN5aiter36gated_rmsnorm_fp8_group_quant_kernelIDF16_DB8_Li128ELi16ELi256ELb0EEEvPT0_PfPKT_S7_S7_diiillll
                                        ; -- End function
	.section	.AMDGPU.csdata,"",@progbits
; Kernel info:
; codeLenInByte = 4464
; NumSgprs: 30
; NumVgprs: 66
; NumAgprs: 0
; TotalNumVgprs: 66
; ScratchSize: 0
; MemoryBound: 0
; FloatMode: 240
; IeeeMode: 1
; LDSByteSize: 0 bytes/workgroup (compile time only)
; SGPRBlocks: 3
; VGPRBlocks: 8
; NumSGPRsForWavesPerEU: 30
; NumVGPRsForWavesPerEU: 66
; AccumOffset: 68
; Occupancy: 7
; WaveLimiterHint : 0
; COMPUTE_PGM_RSRC2:SCRATCH_EN: 0
; COMPUTE_PGM_RSRC2:USER_SGPR: 2
; COMPUTE_PGM_RSRC2:TRAP_HANDLER: 0
; COMPUTE_PGM_RSRC2:TGID_X_EN: 1
; COMPUTE_PGM_RSRC2:TGID_Y_EN: 1
; COMPUTE_PGM_RSRC2:TGID_Z_EN: 0
; COMPUTE_PGM_RSRC2:TIDIG_COMP_CNT: 0
; COMPUTE_PGM_RSRC3_GFX90A:ACCUM_OFFSET: 16
; COMPUTE_PGM_RSRC3_GFX90A:TG_SPLIT: 0
	.text
	.p2alignl 6, 3212836864
	.fill 256, 4, 3212836864
	.type	__hip_cuid_7ac1c300ecde7935,@object ; @__hip_cuid_7ac1c300ecde7935
	.section	.bss,"aw",@nobits
	.globl	__hip_cuid_7ac1c300ecde7935
__hip_cuid_7ac1c300ecde7935:
	.byte	0                               ; 0x0
	.size	__hip_cuid_7ac1c300ecde7935, 1

	.ident	"AMD clang version 19.0.0git (https://github.com/RadeonOpenCompute/llvm-project roc-6.4.0 25133 c7fe45cf4b819c5991fe208aaa96edf142730f1d)"
	.section	".note.GNU-stack","",@progbits
	.addrsig
	.addrsig_sym __hip_cuid_7ac1c300ecde7935
	.amdgpu_metadata
---
amdhsa.kernels:
  - .agpr_count:     0
    .args:           []
    .group_segment_fixed_size: 0
    .kernarg_segment_align: 4
    .kernarg_segment_size: 0
    .language:       OpenCL C
    .language_version:
      - 2
      - 0
    .max_flat_workgroup_size: 1024
    .name:           _ZN7ck_tileL11flush_cacheEv
    .private_segment_fixed_size: 0
    .sgpr_count:     6
    .sgpr_spill_count: 0
    .symbol:         _ZN7ck_tileL11flush_cacheEv.kd
    .uniform_work_group_size: 1
    .uses_dynamic_stack: false
    .vgpr_count:     0
    .vgpr_spill_count: 0
    .wavefront_size: 64
  - .agpr_count:     0
    .args:
      - .actual_access:  write_only
        .address_space:  global
        .offset:         0
        .size:           8
        .value_kind:     global_buffer
      - .actual_access:  write_only
        .address_space:  global
        .offset:         8
        .size:           8
        .value_kind:     global_buffer
      - .actual_access:  read_only
        .address_space:  global
        .offset:         16
        .size:           8
        .value_kind:     global_buffer
      - .actual_access:  read_only
        .address_space:  global
        .offset:         24
        .size:           8
        .value_kind:     global_buffer
      - .actual_access:  read_only
        .address_space:  global
        .offset:         32
        .size:           8
        .value_kind:     global_buffer
      - .offset:         40
        .size:           8
        .value_kind:     by_value
      - .offset:         48
        .size:           4
        .value_kind:     by_value
      - .offset:         52
        .size:           4
        .value_kind:     by_value
      - .offset:         56
        .size:           4
        .value_kind:     by_value
      - .offset:         64
        .size:           8
        .value_kind:     by_value
      - .offset:         72
        .size:           8
        .value_kind:     by_value
      - .offset:         80
        .size:           8
        .value_kind:     by_value
      - .offset:         88
        .size:           8
        .value_kind:     by_value
    .group_segment_fixed_size: 0
    .kernarg_segment_align: 8
    .kernarg_segment_size: 96
    .language:       OpenCL C
    .language_version:
      - 2
      - 0
    .max_flat_workgroup_size: 1024
    .name:           _ZN5aiter36gated_rmsnorm_fp8_group_quant_kernelItDB8_Li128ELi16ELi256ELb1EEEvPT0_PfPKT_S7_S7_diiillll
    .private_segment_fixed_size: 0
    .sgpr_count:     30
    .sgpr_spill_count: 0
    .symbol:         _ZN5aiter36gated_rmsnorm_fp8_group_quant_kernelItDB8_Li128ELi16ELi256ELb1EEEvPT0_PfPKT_S7_S7_diiillll.kd
    .uniform_work_group_size: 1
    .uses_dynamic_stack: false
    .vgpr_count:     58
    .vgpr_spill_count: 0
    .wavefront_size: 64
  - .agpr_count:     0
    .args:
      - .actual_access:  write_only
        .address_space:  global
        .offset:         0
        .size:           8
        .value_kind:     global_buffer
      - .actual_access:  write_only
        .address_space:  global
        .offset:         8
        .size:           8
        .value_kind:     global_buffer
      - .actual_access:  read_only
        .address_space:  global
        .offset:         16
        .size:           8
        .value_kind:     global_buffer
      - .actual_access:  read_only
        .address_space:  global
        .offset:         24
        .size:           8
        .value_kind:     global_buffer
      - .actual_access:  read_only
        .address_space:  global
        .offset:         32
        .size:           8
        .value_kind:     global_buffer
      - .offset:         40
        .size:           8
        .value_kind:     by_value
      - .offset:         48
        .size:           4
        .value_kind:     by_value
      - .offset:         52
        .size:           4
        .value_kind:     by_value
      - .offset:         56
        .size:           4
        .value_kind:     by_value
      - .offset:         64
        .size:           8
        .value_kind:     by_value
      - .offset:         72
        .size:           8
        .value_kind:     by_value
      - .offset:         80
        .size:           8
        .value_kind:     by_value
      - .offset:         88
        .size:           8
        .value_kind:     by_value
    .group_segment_fixed_size: 0
    .kernarg_segment_align: 8
    .kernarg_segment_size: 96
    .language:       OpenCL C
    .language_version:
      - 2
      - 0
    .max_flat_workgroup_size: 1024
    .name:           _ZN5aiter36gated_rmsnorm_fp8_group_quant_kernelItDB8_Li128ELi16ELi256ELb0EEEvPT0_PfPKT_S7_S7_diiillll
    .private_segment_fixed_size: 0
    .sgpr_count:     30
    .sgpr_spill_count: 0
    .symbol:         _ZN5aiter36gated_rmsnorm_fp8_group_quant_kernelItDB8_Li128ELi16ELi256ELb0EEEvPT0_PfPKT_S7_S7_diiillll.kd
    .uniform_work_group_size: 1
    .uses_dynamic_stack: false
    .vgpr_count:     58
    .vgpr_spill_count: 0
    .wavefront_size: 64
  - .agpr_count:     0
    .args:
      - .actual_access:  write_only
        .address_space:  global
        .offset:         0
        .size:           8
        .value_kind:     global_buffer
      - .actual_access:  write_only
        .address_space:  global
        .offset:         8
        .size:           8
        .value_kind:     global_buffer
      - .actual_access:  read_only
        .address_space:  global
        .offset:         16
        .size:           8
        .value_kind:     global_buffer
      - .actual_access:  read_only
        .address_space:  global
        .offset:         24
        .size:           8
        .value_kind:     global_buffer
      - .actual_access:  read_only
        .address_space:  global
        .offset:         32
        .size:           8
        .value_kind:     global_buffer
      - .offset:         40
        .size:           8
        .value_kind:     by_value
      - .offset:         48
        .size:           4
        .value_kind:     by_value
      - .offset:         52
        .size:           4
        .value_kind:     by_value
      - .offset:         56
        .size:           4
        .value_kind:     by_value
      - .offset:         64
        .size:           8
        .value_kind:     by_value
      - .offset:         72
        .size:           8
        .value_kind:     by_value
      - .offset:         80
        .size:           8
        .value_kind:     by_value
      - .offset:         88
        .size:           8
        .value_kind:     by_value
    .group_segment_fixed_size: 0
    .kernarg_segment_align: 8
    .kernarg_segment_size: 96
    .language:       OpenCL C
    .language_version:
      - 2
      - 0
    .max_flat_workgroup_size: 1024
    .name:           _ZN5aiter36gated_rmsnorm_fp8_group_quant_kernelIDF16_DB8_Li128ELi16ELi256ELb1EEEvPT0_PfPKT_S7_S7_diiillll
    .private_segment_fixed_size: 0
    .sgpr_count:     30
    .sgpr_spill_count: 0
    .symbol:         _ZN5aiter36gated_rmsnorm_fp8_group_quant_kernelIDF16_DB8_Li128ELi16ELi256ELb1EEEvPT0_PfPKT_S7_S7_diiillll.kd
    .uniform_work_group_size: 1
    .uses_dynamic_stack: false
    .vgpr_count:     66
    .vgpr_spill_count: 0
    .wavefront_size: 64
  - .agpr_count:     0
    .args:
      - .actual_access:  write_only
        .address_space:  global
        .offset:         0
        .size:           8
        .value_kind:     global_buffer
      - .actual_access:  write_only
        .address_space:  global
        .offset:         8
        .size:           8
        .value_kind:     global_buffer
      - .actual_access:  read_only
        .address_space:  global
        .offset:         16
        .size:           8
        .value_kind:     global_buffer
      - .actual_access:  read_only
        .address_space:  global
        .offset:         24
        .size:           8
        .value_kind:     global_buffer
      - .actual_access:  read_only
        .address_space:  global
        .offset:         32
        .size:           8
        .value_kind:     global_buffer
      - .offset:         40
        .size:           8
        .value_kind:     by_value
      - .offset:         48
        .size:           4
        .value_kind:     by_value
      - .offset:         52
        .size:           4
        .value_kind:     by_value
      - .offset:         56
        .size:           4
        .value_kind:     by_value
      - .offset:         64
        .size:           8
        .value_kind:     by_value
      - .offset:         72
        .size:           8
        .value_kind:     by_value
      - .offset:         80
        .size:           8
        .value_kind:     by_value
      - .offset:         88
        .size:           8
        .value_kind:     by_value
    .group_segment_fixed_size: 0
    .kernarg_segment_align: 8
    .kernarg_segment_size: 96
    .language:       OpenCL C
    .language_version:
      - 2
      - 0
    .max_flat_workgroup_size: 1024
    .name:           _ZN5aiter36gated_rmsnorm_fp8_group_quant_kernelIDF16_DB8_Li128ELi16ELi256ELb0EEEvPT0_PfPKT_S7_S7_diiillll
    .private_segment_fixed_size: 0
    .sgpr_count:     30
    .sgpr_spill_count: 0
    .symbol:         _ZN5aiter36gated_rmsnorm_fp8_group_quant_kernelIDF16_DB8_Li128ELi16ELi256ELb0EEEvPT0_PfPKT_S7_S7_diiillll.kd
    .uniform_work_group_size: 1
    .uses_dynamic_stack: false
    .vgpr_count:     66
    .vgpr_spill_count: 0
    .wavefront_size: 64
amdhsa.target:   amdgcn-amd-amdhsa--gfx942
amdhsa.version:
  - 1
  - 2
...

	.end_amdgpu_metadata
